;; amdgpu-corpus repo=ROCm/rocFFT kind=compiled arch=gfx1030 opt=O3
	.text
	.amdgcn_target "amdgcn-amd-amdhsa--gfx1030"
	.amdhsa_code_object_version 6
	.protected	fft_rtc_back_len1512_factors_2_2_2_3_3_3_7_wgs_63_tpt_63_halfLds_sp_ip_CI_sbrr_dirReg ; -- Begin function fft_rtc_back_len1512_factors_2_2_2_3_3_3_7_wgs_63_tpt_63_halfLds_sp_ip_CI_sbrr_dirReg
	.globl	fft_rtc_back_len1512_factors_2_2_2_3_3_3_7_wgs_63_tpt_63_halfLds_sp_ip_CI_sbrr_dirReg
	.p2align	8
	.type	fft_rtc_back_len1512_factors_2_2_2_3_3_3_7_wgs_63_tpt_63_halfLds_sp_ip_CI_sbrr_dirReg,@function
fft_rtc_back_len1512_factors_2_2_2_3_3_3_7_wgs_63_tpt_63_halfLds_sp_ip_CI_sbrr_dirReg: ; @fft_rtc_back_len1512_factors_2_2_2_3_3_3_7_wgs_63_tpt_63_halfLds_sp_ip_CI_sbrr_dirReg
; %bb.0:
	s_clause 0x2
	s_load_dwordx2 s[14:15], s[4:5], 0x18
	s_load_dwordx4 s[8:11], s[4:5], 0x0
	s_load_dwordx2 s[12:13], s[4:5], 0x50
	v_mul_u32_u24_e32 v1, 0x411, v0
	v_mov_b32_e32 v3, 0
	v_add_nc_u32_sdwa v5, s6, v1 dst_sel:DWORD dst_unused:UNUSED_PAD src0_sel:DWORD src1_sel:WORD_1
	v_mov_b32_e32 v1, 0
	v_mov_b32_e32 v6, v3
	v_mov_b32_e32 v2, 0
	s_waitcnt lgkmcnt(0)
	s_load_dwordx2 s[2:3], s[14:15], 0x0
	v_cmp_lt_u64_e64 s0, s[10:11], 2
	s_and_b32 vcc_lo, exec_lo, s0
	s_cbranch_vccnz .LBB0_8
; %bb.1:
	s_load_dwordx2 s[0:1], s[4:5], 0x10
	v_mov_b32_e32 v1, 0
	s_add_u32 s6, s14, 8
	v_mov_b32_e32 v2, 0
	s_addc_u32 s7, s15, 0
	s_mov_b64 s[18:19], 1
	s_waitcnt lgkmcnt(0)
	s_add_u32 s16, s0, 8
	s_addc_u32 s17, s1, 0
.LBB0_2:                                ; =>This Inner Loop Header: Depth=1
	s_load_dwordx2 s[20:21], s[16:17], 0x0
                                        ; implicit-def: $vgpr7_vgpr8
	s_mov_b32 s0, exec_lo
	s_waitcnt lgkmcnt(0)
	v_or_b32_e32 v4, s21, v6
	v_cmpx_ne_u64_e32 0, v[3:4]
	s_xor_b32 s1, exec_lo, s0
	s_cbranch_execz .LBB0_4
; %bb.3:                                ;   in Loop: Header=BB0_2 Depth=1
	v_cvt_f32_u32_e32 v4, s20
	v_cvt_f32_u32_e32 v7, s21
	s_sub_u32 s0, 0, s20
	s_subb_u32 s22, 0, s21
	v_fmac_f32_e32 v4, 0x4f800000, v7
	v_rcp_f32_e32 v4, v4
	v_mul_f32_e32 v4, 0x5f7ffffc, v4
	v_mul_f32_e32 v7, 0x2f800000, v4
	v_trunc_f32_e32 v7, v7
	v_fmac_f32_e32 v4, 0xcf800000, v7
	v_cvt_u32_f32_e32 v7, v7
	v_cvt_u32_f32_e32 v4, v4
	v_mul_lo_u32 v8, s0, v7
	v_mul_hi_u32 v9, s0, v4
	v_mul_lo_u32 v10, s22, v4
	v_add_nc_u32_e32 v8, v9, v8
	v_mul_lo_u32 v9, s0, v4
	v_add_nc_u32_e32 v8, v8, v10
	v_mul_hi_u32 v10, v4, v9
	v_mul_lo_u32 v11, v4, v8
	v_mul_hi_u32 v12, v4, v8
	v_mul_hi_u32 v13, v7, v9
	v_mul_lo_u32 v9, v7, v9
	v_mul_hi_u32 v14, v7, v8
	v_mul_lo_u32 v8, v7, v8
	v_add_co_u32 v10, vcc_lo, v10, v11
	v_add_co_ci_u32_e32 v11, vcc_lo, 0, v12, vcc_lo
	v_add_co_u32 v9, vcc_lo, v10, v9
	v_add_co_ci_u32_e32 v9, vcc_lo, v11, v13, vcc_lo
	v_add_co_ci_u32_e32 v10, vcc_lo, 0, v14, vcc_lo
	v_add_co_u32 v8, vcc_lo, v9, v8
	v_add_co_ci_u32_e32 v9, vcc_lo, 0, v10, vcc_lo
	v_add_co_u32 v4, vcc_lo, v4, v8
	v_add_co_ci_u32_e32 v7, vcc_lo, v7, v9, vcc_lo
	v_mul_hi_u32 v8, s0, v4
	v_mul_lo_u32 v10, s22, v4
	v_mul_lo_u32 v9, s0, v7
	v_add_nc_u32_e32 v8, v8, v9
	v_mul_lo_u32 v9, s0, v4
	v_add_nc_u32_e32 v8, v8, v10
	v_mul_hi_u32 v10, v4, v9
	v_mul_lo_u32 v11, v4, v8
	v_mul_hi_u32 v12, v4, v8
	v_mul_hi_u32 v13, v7, v9
	v_mul_lo_u32 v9, v7, v9
	v_mul_hi_u32 v14, v7, v8
	v_mul_lo_u32 v8, v7, v8
	v_add_co_u32 v10, vcc_lo, v10, v11
	v_add_co_ci_u32_e32 v11, vcc_lo, 0, v12, vcc_lo
	v_add_co_u32 v9, vcc_lo, v10, v9
	v_add_co_ci_u32_e32 v9, vcc_lo, v11, v13, vcc_lo
	v_add_co_ci_u32_e32 v10, vcc_lo, 0, v14, vcc_lo
	v_add_co_u32 v8, vcc_lo, v9, v8
	v_add_co_ci_u32_e32 v9, vcc_lo, 0, v10, vcc_lo
	v_add_co_u32 v4, vcc_lo, v4, v8
	v_add_co_ci_u32_e32 v11, vcc_lo, v7, v9, vcc_lo
	v_mul_hi_u32 v13, v5, v4
	v_mad_u64_u32 v[9:10], null, v6, v4, 0
	v_mad_u64_u32 v[7:8], null, v5, v11, 0
	;; [unrolled: 1-line block ×3, first 2 shown]
	v_add_co_u32 v4, vcc_lo, v13, v7
	v_add_co_ci_u32_e32 v7, vcc_lo, 0, v8, vcc_lo
	v_add_co_u32 v4, vcc_lo, v4, v9
	v_add_co_ci_u32_e32 v4, vcc_lo, v7, v10, vcc_lo
	v_add_co_ci_u32_e32 v7, vcc_lo, 0, v12, vcc_lo
	v_add_co_u32 v4, vcc_lo, v4, v11
	v_add_co_ci_u32_e32 v9, vcc_lo, 0, v7, vcc_lo
	v_mul_lo_u32 v10, s21, v4
	v_mad_u64_u32 v[7:8], null, s20, v4, 0
	v_mul_lo_u32 v11, s20, v9
	v_sub_co_u32 v7, vcc_lo, v5, v7
	v_add3_u32 v8, v8, v11, v10
	v_sub_nc_u32_e32 v10, v6, v8
	v_subrev_co_ci_u32_e64 v10, s0, s21, v10, vcc_lo
	v_add_co_u32 v11, s0, v4, 2
	v_add_co_ci_u32_e64 v12, s0, 0, v9, s0
	v_sub_co_u32 v13, s0, v7, s20
	v_sub_co_ci_u32_e32 v8, vcc_lo, v6, v8, vcc_lo
	v_subrev_co_ci_u32_e64 v10, s0, 0, v10, s0
	v_cmp_le_u32_e32 vcc_lo, s20, v13
	v_cmp_eq_u32_e64 s0, s21, v8
	v_cndmask_b32_e64 v13, 0, -1, vcc_lo
	v_cmp_le_u32_e32 vcc_lo, s21, v10
	v_cndmask_b32_e64 v14, 0, -1, vcc_lo
	v_cmp_le_u32_e32 vcc_lo, s20, v7
	;; [unrolled: 2-line block ×3, first 2 shown]
	v_cndmask_b32_e64 v15, 0, -1, vcc_lo
	v_cmp_eq_u32_e32 vcc_lo, s21, v10
	v_cndmask_b32_e64 v7, v15, v7, s0
	v_cndmask_b32_e32 v10, v14, v13, vcc_lo
	v_add_co_u32 v13, vcc_lo, v4, 1
	v_add_co_ci_u32_e32 v14, vcc_lo, 0, v9, vcc_lo
	v_cmp_ne_u32_e32 vcc_lo, 0, v10
	v_cndmask_b32_e32 v8, v14, v12, vcc_lo
	v_cndmask_b32_e32 v10, v13, v11, vcc_lo
	v_cmp_ne_u32_e32 vcc_lo, 0, v7
	v_cndmask_b32_e32 v8, v9, v8, vcc_lo
	v_cndmask_b32_e32 v7, v4, v10, vcc_lo
.LBB0_4:                                ;   in Loop: Header=BB0_2 Depth=1
	s_andn2_saveexec_b32 s0, s1
	s_cbranch_execz .LBB0_6
; %bb.5:                                ;   in Loop: Header=BB0_2 Depth=1
	v_cvt_f32_u32_e32 v4, s20
	s_sub_i32 s1, 0, s20
	v_rcp_iflag_f32_e32 v4, v4
	v_mul_f32_e32 v4, 0x4f7ffffe, v4
	v_cvt_u32_f32_e32 v4, v4
	v_mul_lo_u32 v7, s1, v4
	v_mul_hi_u32 v7, v4, v7
	v_add_nc_u32_e32 v4, v4, v7
	v_mul_hi_u32 v4, v5, v4
	v_mul_lo_u32 v7, v4, s20
	v_add_nc_u32_e32 v8, 1, v4
	v_sub_nc_u32_e32 v7, v5, v7
	v_subrev_nc_u32_e32 v9, s20, v7
	v_cmp_le_u32_e32 vcc_lo, s20, v7
	v_cndmask_b32_e32 v7, v7, v9, vcc_lo
	v_cndmask_b32_e32 v4, v4, v8, vcc_lo
	v_cmp_le_u32_e32 vcc_lo, s20, v7
	v_add_nc_u32_e32 v8, 1, v4
	v_cndmask_b32_e32 v7, v4, v8, vcc_lo
	v_mov_b32_e32 v8, v3
.LBB0_6:                                ;   in Loop: Header=BB0_2 Depth=1
	s_or_b32 exec_lo, exec_lo, s0
	s_load_dwordx2 s[0:1], s[6:7], 0x0
	v_mul_lo_u32 v4, v8, s20
	v_mul_lo_u32 v11, v7, s21
	v_mad_u64_u32 v[9:10], null, v7, s20, 0
	s_add_u32 s18, s18, 1
	s_addc_u32 s19, s19, 0
	s_add_u32 s6, s6, 8
	s_addc_u32 s7, s7, 0
	;; [unrolled: 2-line block ×3, first 2 shown]
	v_add3_u32 v4, v10, v11, v4
	v_sub_co_u32 v5, vcc_lo, v5, v9
	v_sub_co_ci_u32_e32 v4, vcc_lo, v6, v4, vcc_lo
	s_waitcnt lgkmcnt(0)
	v_mul_lo_u32 v6, s1, v5
	v_mul_lo_u32 v4, s0, v4
	v_mad_u64_u32 v[1:2], null, s0, v5, v[1:2]
	v_cmp_ge_u64_e64 s0, s[18:19], s[10:11]
	s_and_b32 vcc_lo, exec_lo, s0
	v_add3_u32 v2, v6, v2, v4
	s_cbranch_vccnz .LBB0_9
; %bb.7:                                ;   in Loop: Header=BB0_2 Depth=1
	v_mov_b32_e32 v5, v7
	v_mov_b32_e32 v6, v8
	s_branch .LBB0_2
.LBB0_8:
	v_mov_b32_e32 v8, v6
	v_mov_b32_e32 v7, v5
.LBB0_9:
	s_lshl_b64 s[0:1], s[10:11], 3
	v_mul_hi_u32 v3, 0x4104105, v0
	s_add_u32 s0, s14, s0
	s_addc_u32 s1, s15, s1
	s_load_dwordx2 s[4:5], s[4:5], 0x20
	s_load_dwordx2 s[0:1], s[0:1], 0x0
                                        ; implicit-def: $vgpr88
                                        ; implicit-def: $vgpr52
                                        ; implicit-def: $vgpr93
	v_mul_u32_u24_e32 v3, 63, v3
	v_sub_nc_u32_e32 v92, v0, v3
	v_add_nc_u32_e32 v95, 63, v92
	v_add_nc_u32_e32 v94, 0x7e, v92
	v_add_nc_u32_e32 v54, 0xfc, v92
	v_add_nc_u32_e32 v51, 0x13b, v92
	v_add_nc_u32_e32 v53, 0x17a, v92
	s_waitcnt lgkmcnt(0)
	v_cmp_gt_u64_e32 vcc_lo, s[4:5], v[7:8]
	v_mul_lo_u32 v3, s0, v8
	v_mul_lo_u32 v4, s1, v7
	v_mad_u64_u32 v[0:1], null, s0, v7, v[1:2]
	v_cmp_le_u64_e64 s0, s[4:5], v[7:8]
	v_add_nc_u32_e32 v50, 0x1b9, v92
	v_add_nc_u32_e32 v64, 0x1f8, v92
	;; [unrolled: 1-line block ×5, first 2 shown]
	v_add3_u32 v1, v4, v1, v3
                                        ; implicit-def: $sgpr4_sgpr5
	s_and_saveexec_b32 s1, s0
	s_xor_b32 s0, exec_lo, s1
	s_cbranch_execz .LBB0_11
; %bb.10:
	v_add_nc_u32_e32 v88, 63, v92
	v_add_nc_u32_e32 v52, 0x7e, v92
	;; [unrolled: 1-line block ×11, first 2 shown]
	s_mov_b64 s[4:5], 0
.LBB0_11:
	s_or_saveexec_b32 s1, s0
	v_mov_b32_e32 v47, s5
	v_lshlrev_b64 v[36:37], 3, v[0:1]
	v_mov_b32_e32 v31, s5
	v_mov_b32_e32 v9, s5
	;; [unrolled: 1-line block ×23, first 2 shown]
                                        ; implicit-def: $vgpr49
                                        ; implicit-def: $vgpr39
                                        ; implicit-def: $vgpr41
                                        ; implicit-def: $vgpr35
                                        ; implicit-def: $vgpr21
                                        ; implicit-def: $vgpr23
                                        ; implicit-def: $vgpr29
                                        ; implicit-def: $vgpr25
                                        ; implicit-def: $vgpr27
                                        ; implicit-def: $vgpr33
                                        ; implicit-def: $vgpr43
                                        ; implicit-def: $vgpr45
	s_xor_b32 exec_lo, exec_lo, s1
	s_cbranch_execz .LBB0_13
; %bb.12:
	v_add_nc_u32_e32 v8, 0x2f4, v92
	v_mad_u64_u32 v[0:1], null, s2, v92, 0
	v_mad_u64_u32 v[4:5], null, s2, v95, 0
	;; [unrolled: 1-line block ×3, first 2 shown]
	v_add_nc_u32_e32 v12, 0x333, v92
	v_mad_u64_u32 v[10:11], null, s2, v94, 0
	v_add_nc_u32_e32 v16, 0x372, v92
	v_add_co_u32 v44, s0, s12, v36
	v_mad_u64_u32 v[6:7], null, s3, v92, v[1:2]
	v_mov_b32_e32 v1, v3
	v_mov_b32_e32 v3, v5
	v_add_co_ci_u32_e64 v45, s0, s13, v37, s0
	v_add_nc_u32_e32 v93, 0xbd, v92
	v_mad_u64_u32 v[7:8], null, s3, v8, v[1:2]
	v_mad_u64_u32 v[8:9], null, s2, v12, 0
	v_mov_b32_e32 v1, v6
	v_mad_u64_u32 v[5:6], null, s3, v95, v[3:4]
	v_mad_u64_u32 v[14:15], null, s2, v93, 0
	v_mov_b32_e32 v3, v7
	v_mov_b32_e32 v6, v9
	v_lshlrev_b64 v[0:1], 3, v[0:1]
	v_add_nc_u32_e32 v21, 0x3b1, v92
	v_lshlrev_b64 v[4:5], 3, v[4:5]
	v_lshlrev_b64 v[2:3], 3, v[2:3]
	v_mad_u64_u32 v[6:7], null, s3, v12, v[6:7]
	v_mov_b32_e32 v7, v11
	v_mad_u64_u32 v[12:13], null, s2, v16, 0
	v_add_co_u32 v0, s0, v44, v0
	v_add_co_ci_u32_e64 v1, s0, v45, v1, s0
	v_mov_b32_e32 v9, v6
	v_mad_u64_u32 v[6:7], null, s3, v94, v[7:8]
	v_add_co_u32 v2, s0, v44, v2
	v_lshlrev_b64 v[7:8], 3, v[8:9]
	v_add_co_ci_u32_e64 v3, s0, v45, v3, s0
	v_mov_b32_e32 v9, v13
	v_mov_b32_e32 v11, v6
	v_add_co_u32 v4, s0, v44, v4
	v_add_co_ci_u32_e64 v5, s0, v45, v5, s0
	v_add_co_u32 v6, s0, v44, v7
	v_mad_u64_u32 v[16:17], null, s3, v16, v[9:10]
	v_lshlrev_b64 v[9:10], 3, v[10:11]
	v_add_co_ci_u32_e64 v7, s0, v45, v8, s0
	v_mov_b32_e32 v8, v15
	v_mad_u64_u32 v[17:18], null, s2, v21, 0
	v_mov_b32_e32 v13, v16
	v_add_nc_u32_e32 v25, 0x3f0, v92
	v_mad_u64_u32 v[19:20], null, s3, v93, v[8:9]
	v_add_co_u32 v8, s0, v44, v9
	v_add_co_ci_u32_e64 v9, s0, v45, v10, s0
	v_lshlrev_b64 v[10:11], 3, v[12:13]
	v_mov_b32_e32 v12, v18
	v_mov_b32_e32 v15, v19
	v_mad_u64_u32 v[19:20], null, s2, v54, 0
	v_mad_u64_u32 v[23:24], null, s2, v51, 0
	;; [unrolled: 1-line block ×3, first 2 shown]
	v_lshlrev_b64 v[13:14], 3, v[14:15]
	v_mad_u64_u32 v[21:22], null, s2, v25, 0
	v_mov_b32_e32 v15, v20
	v_add_co_u32 v10, s0, v44, v10
	v_add_co_ci_u32_e64 v11, s0, v45, v11, s0
	v_mov_b32_e32 v18, v12
	v_mad_u64_u32 v[15:16], null, s3, v54, v[15:16]
	v_add_co_u32 v12, s0, v44, v13
	v_add_co_ci_u32_e64 v13, s0, v45, v14, s0
	v_mov_b32_e32 v14, v22
	v_lshlrev_b64 v[16:17], 3, v[17:18]
	v_add_nc_u32_e32 v29, 0x42f, v92
	v_mov_b32_e32 v20, v15
	v_mad_u64_u32 v[27:28], null, s2, v53, 0
	v_mad_u64_u32 v[14:15], null, s3, v25, v[14:15]
	v_mov_b32_e32 v15, v24
	v_mad_u64_u32 v[25:26], null, s2, v29, 0
	v_add_co_u32 v16, s0, v44, v16
	v_lshlrev_b64 v[18:19], 3, v[19:20]
	v_mov_b32_e32 v22, v14
	v_add_nc_u32_e32 v35, 0x4ad, v92
	v_mad_u64_u32 v[14:15], null, s3, v51, v[15:16]
	v_mov_b32_e32 v15, v26
	v_lshlrev_b64 v[20:21], 3, v[21:22]
	v_add_co_ci_u32_e64 v17, s0, v45, v17, s0
	v_add_co_u32 v18, s0, v44, v18
	v_mov_b32_e32 v24, v14
	v_mad_u64_u32 v[14:15], null, s3, v29, v[15:16]
	v_mov_b32_e32 v15, v28
	v_add_nc_u32_e32 v28, 0x46e, v92
	v_lshlrev_b64 v[22:23], 3, v[23:24]
	v_add_co_ci_u32_e64 v19, s0, v45, v19, s0
	v_mad_u64_u32 v[31:32], null, s3, v53, v[15:16]
	v_mad_u64_u32 v[29:30], null, s2, v28, 0
	v_mov_b32_e32 v26, v14
	v_add_co_u32 v20, s0, v44, v20
	v_add_co_ci_u32_e64 v21, s0, v45, v21, s0
	v_lshlrev_b64 v[14:15], 3, v[25:26]
	v_mad_u64_u32 v[25:26], null, s2, v50, 0
	v_mov_b32_e32 v24, v30
	v_add_co_u32 v22, s0, v44, v22
	v_add_co_ci_u32_e64 v23, s0, v45, v23, s0
	v_add_co_u32 v55, s0, v44, v14
	v_mad_u64_u32 v[32:33], null, s3, v28, v[24:25]
	v_mad_u64_u32 v[33:34], null, s2, v35, 0
	v_add_co_ci_u32_e64 v56, s0, v45, v15, s0
	v_mov_b32_e32 v14, v26
	v_mov_b32_e32 v28, v31
	;; [unrolled: 1-line block ×3, first 2 shown]
	v_add_nc_u32_e32 v40, 0x4ec, v92
	v_mov_b32_e32 v15, v34
	v_mad_u64_u32 v[38:39], null, s2, v63, 0
	v_lshlrev_b64 v[26:27], 3, v[27:28]
	v_lshlrev_b64 v[28:29], 3, v[29:30]
	v_mad_u64_u32 v[31:32], null, s3, v50, v[14:15]
	v_mad_u64_u32 v[14:15], null, s3, v35, v[15:16]
	v_add_co_u32 v57, s0, v44, v26
	v_add_co_ci_u32_e64 v58, s0, v45, v27, s0
	v_mov_b32_e32 v26, v31
	v_mad_u64_u32 v[30:31], null, s2, v40, 0
	v_mov_b32_e32 v34, v14
	v_mad_u64_u32 v[14:15], null, s2, v64, 0
	v_add_co_u32 v27, s0, v44, v28
	v_lshlrev_b64 v[24:25], 3, v[25:26]
	v_mov_b32_e32 v26, v31
	v_add_nc_u32_e32 v43, 0x52b, v92
	v_lshlrev_b64 v[32:33], 3, v[33:34]
	v_mad_u64_u32 v[34:35], null, s3, v64, v[15:16]
	v_mad_u64_u32 v[40:41], null, s3, v40, v[26:27]
	;; [unrolled: 1-line block ×3, first 2 shown]
	v_mov_b32_e32 v26, v39
	v_add_co_ci_u32_e64 v28, s0, v45, v29, s0
	v_mov_b32_e32 v15, v34
	v_add_co_u32 v24, s0, v44, v24
	v_mad_u64_u32 v[34:35], null, s3, v63, v[26:27]
	v_mov_b32_e32 v29, v42
	v_add_co_ci_u32_e64 v25, s0, v45, v25, s0
	v_add_co_u32 v59, s0, v44, v32
	v_lshlrev_b64 v[14:15], 3, v[14:15]
	v_add_co_ci_u32_e64 v60, s0, v45, v33, s0
	v_mad_u64_u32 v[32:33], null, s3, v43, v[29:30]
	v_mov_b32_e32 v31, v40
	v_mov_b32_e32 v39, v34
	v_mad_u64_u32 v[33:34], null, s2, v62, 0
	v_add_nc_u32_e32 v40, 0x56a, v92
	v_add_co_u32 v65, s0, v44, v14
	v_add_co_ci_u32_e64 v66, s0, v45, v15, s0
	v_lshlrev_b64 v[14:15], 3, v[38:39]
	v_mad_u64_u32 v[38:39], null, s2, v40, 0
	v_mov_b32_e32 v26, v34
	v_lshlrev_b64 v[29:30], 3, v[30:31]
	v_mov_b32_e32 v42, v32
	v_mov_b32_e32 v52, v94
	v_mov_b32_e32 v88, v95
	v_mad_u64_u32 v[34:35], null, s3, v62, v[26:27]
	v_mov_b32_e32 v31, v39
	v_add_nc_u32_e32 v26, 0x5a9, v92
	v_add_co_u32 v67, s0, v44, v29
	v_add_co_ci_u32_e64 v68, s0, v45, v30, s0
	v_lshlrev_b64 v[29:30], 3, v[41:42]
	v_mad_u64_u32 v[31:32], null, s3, v40, v[31:32]
	v_mad_u64_u32 v[40:41], null, s2, v61, 0
	v_mad_u64_u32 v[42:43], null, s2, v26, 0
	v_add_co_u32 v69, s0, v44, v14
	v_add_co_ci_u32_e64 v70, s0, v45, v15, s0
	v_mov_b32_e32 v14, v41
	v_mov_b32_e32 v39, v31
	;; [unrolled: 1-line block ×3, first 2 shown]
	v_lshlrev_b64 v[31:32], 3, v[33:34]
	v_add_co_u32 v71, s0, v44, v29
	v_add_co_ci_u32_e64 v72, s0, v45, v30, s0
	v_mad_u64_u32 v[33:34], null, s3, v61, v[14:15]
	v_mad_u64_u32 v[14:15], null, s3, v26, v[15:16]
	v_lshlrev_b64 v[29:30], 3, v[38:39]
	v_add_co_u32 v73, s0, v44, v31
	v_add_co_ci_u32_e64 v74, s0, v45, v32, s0
	v_mov_b32_e32 v41, v33
	v_mov_b32_e32 v43, v14
	v_add_co_u32 v75, s0, v44, v29
	v_add_co_ci_u32_e64 v76, s0, v45, v30, s0
	v_lshlrev_b64 v[14:15], 3, v[40:41]
	v_lshlrev_b64 v[29:30], 3, v[42:43]
	v_add_co_u32 v77, s0, v44, v14
	v_add_co_ci_u32_e64 v78, s0, v45, v15, s0
	v_add_co_u32 v79, s0, v44, v29
	v_add_co_ci_u32_e64 v80, s0, v45, v30, s0
	s_clause 0x17
	global_load_dwordx2 v[46:47], v[0:1], off
	global_load_dwordx2 v[48:49], v[2:3], off
	;; [unrolled: 1-line block ×24, first 2 shown]
.LBB0_13:
	s_or_b32 exec_lo, exec_lo, s1
	s_waitcnt vmcnt(22)
	v_sub_f32_e32 v56, v46, v48
	s_waitcnt vmcnt(10)
	v_sub_f32_e32 v74, v10, v32
	v_lshl_add_u32 v32, v92, 3, 0
	v_sub_f32_e32 v58, v30, v44
	v_sub_f32_e32 v60, v8, v42
	v_fma_f32 v55, v46, 2.0, -v56
	v_sub_f32_e32 v66, v14, v38
	v_sub_f32_e32 v68, v16, v40
	;; [unrolled: 1-line block ×4, first 2 shown]
	ds_write_b64 v32, v[55:56]
	s_waitcnt vmcnt(8)
	v_sub_f32_e32 v56, v0, v20
	v_fma_f32 v57, v30, 2.0, -v58
	v_lshl_add_u32 v49, v88, 3, 0
	v_fma_f32 v59, v8, 2.0, -v60
	v_lshl_add_u32 v69, v52, 3, 0
	;; [unrolled: 2-line block ×4, first 2 shown]
	v_fma_f32 v71, v18, 2.0, -v72
	v_fma_f32 v73, v10, 2.0, -v74
	;; [unrolled: 1-line block ×3, first 2 shown]
	v_lshl_add_u32 v86, v51, 3, 0
	v_lshl_add_u32 v87, v53, 3, 0
	;; [unrolled: 1-line block ×3, first 2 shown]
	v_lshlrev_b32_e32 v0, 2, v54
	ds_write_b64 v49, v[57:58]
	s_waitcnt vmcnt(6)
	v_sub_f32_e32 v58, v2, v26
	ds_write_b64 v69, v[59:60]
	s_waitcnt vmcnt(4)
	v_sub_f32_e32 v60, v4, v24
	ds_write_b64 v70, v[65:66]
	ds_write_b64 v75, v[67:68]
	s_waitcnt vmcnt(2)
	v_sub_f32_e32 v66, v6, v22
	ds_write_b64 v86, v[71:72]
	ds_write_b64 v87, v[73:74]
	;; [unrolled: 1-line block ×3, first 2 shown]
	v_sub_nc_u32_e32 v55, v75, v0
	v_lshlrev_b32_e32 v0, 2, v51
	v_fma_f32 v57, v2, 2.0, -v58
	v_lshl_add_u32 v97, v64, 3, 0
	v_lshlrev_b32_e32 v2, 2, v53
	v_fma_f32 v59, v4, 2.0, -v60
	v_lshl_add_u32 v98, v63, 3, 0
	s_waitcnt vmcnt(0)
	v_sub_f32_e32 v68, v12, v28
	v_fma_f32 v65, v6, 2.0, -v66
	v_lshl_add_u32 v99, v62, 3, 0
	v_lshlrev_b32_e32 v6, 2, v64
	v_lshlrev_b32_e32 v8, 2, v63
	v_sub_nc_u32_e32 v56, v86, v0
	v_lshlrev_b32_e32 v0, 2, v62
	v_lshl_add_u32 v100, v61, 3, 0
	ds_write_b64 v97, v[57:58]
	ds_write_b64 v98, v[59:60]
	;; [unrolled: 1-line block ×3, first 2 shown]
	v_sub_nc_u32_e32 v57, v87, v2
	v_lshlrev_b32_e32 v2, 2, v61
	v_lshlrev_b32_e32 v71, 2, v93
	v_lshl_add_u32 v89, v92, 2, 0
	v_fma_f32 v47, v47, 2.0, -v48
	v_fma_f32 v67, v12, 2.0, -v68
	v_lshlrev_b32_e32 v4, 2, v50
	v_sub_nc_u32_e32 v59, v97, v6
	v_sub_nc_u32_e32 v10, v98, v8
	v_lshl_add_u32 v90, v88, 2, 0
	v_sub_nc_u32_e32 v12, v99, v0
	v_lshl_add_u32 v91, v52, 2, 0
	v_sub_nc_u32_e32 v14, v100, v2
	v_sub_nc_u32_e32 v60, v70, v71
	v_add_nc_u32_e32 v76, 0xa00, v89
	ds_write_b64 v100, v[67:68]
	s_waitcnt lgkmcnt(0)
	s_barrier
	buffer_gl0_inv
	v_sub_nc_u32_e32 v58, v96, v4
	v_add_nc_u32_e32 v74, 0xc00, v89
	v_add_nc_u32_e32 v78, 0xe00, v89
	;; [unrolled: 1-line block ×3, first 2 shown]
	ds_read_b32 v0, v89
	ds_read_b32 v2, v90
	;; [unrolled: 1-line block ×8, first 2 shown]
	v_add_nc_u32_e32 v16, 0x1200, v89
	v_add_nc_u32_e32 v79, 0x1400, v89
	ds_read_b32 v34, v59
	ds_read_b32 v38, v10
	;; [unrolled: 1-line block ×4, first 2 shown]
	ds_read2_b32 v[65:66], v76 offset0:116 offset1:179
	ds_read2_b32 v[67:68], v74 offset0:114 offset1:177
	;; [unrolled: 1-line block ×6, first 2 shown]
	s_waitcnt lgkmcnt(0)
	s_barrier
	buffer_gl0_inv
	ds_write_b64 v32, v[47:48]
	v_sub_f32_e32 v32, v31, v45
	v_sub_f32_e32 v44, v9, v43
	v_sub_f32_e32 v46, v15, v39
	v_sub_f32_e32 v18, v17, v41
	v_sub_f32_e32 v20, v19, v35
	v_fma_f32 v31, v31, 2.0, -v32
	v_fma_f32 v43, v9, 2.0, -v44
	;; [unrolled: 1-line block ×5, first 2 shown]
	ds_write_b64 v49, v[31:32]
	ds_write_b64 v69, v[43:44]
	ds_write_b64 v70, v[45:46]
	ds_write_b64 v75, v[17:18]
	ds_write_b64 v86, v[19:20]
	v_sub_f32_e32 v18, v1, v21
	v_sub_f32_e32 v20, v3, v27
	;; [unrolled: 1-line block ×5, first 2 shown]
	v_fma_f32 v17, v1, 2.0, -v18
	v_and_b32_e32 v1, 1, v92
	v_fma_f32 v19, v3, 2.0, -v20
	v_and_b32_e32 v3, 1, v88
	v_sub_f32_e32 v44, v13, v29
	v_fma_f32 v31, v11, 2.0, -v32
	v_fma_f32 v21, v5, 2.0, -v22
	v_lshlrev_b32_e32 v5, 3, v1
	v_and_b32_e32 v9, 1, v93
	v_fma_f32 v23, v7, 2.0, -v24
	v_lshlrev_b32_e32 v7, 3, v3
	v_fma_f32 v43, v13, 2.0, -v44
	ds_write_b64 v87, v[31:32]
	ds_write_b64 v96, v[17:18]
	;; [unrolled: 1-line block ×6, first 2 shown]
	s_waitcnt lgkmcnt(0)
	s_barrier
	buffer_gl0_inv
	s_clause 0x1
	global_load_dwordx2 v[43:44], v5, s[8:9]
	global_load_dwordx2 v[45:46], v7, s[8:9]
	v_lshlrev_b32_e32 v5, 3, v9
	v_and_b32_e32 v7, 1, v51
	v_and_b32_e32 v25, 1, v50
	;; [unrolled: 1-line block ×4, first 2 shown]
	global_load_dwordx2 v[47:48], v5, s[8:9]
	v_lshlrev_b32_e32 v5, 3, v7
	ds_read2_b32 v[102:103], v76 offset0:116 offset1:179
	ds_read2_b32 v[104:105], v74 offset0:114 offset1:177
	;; [unrolled: 1-line block ×3, first 2 shown]
	v_lshlrev_b32_e32 v32, 1, v92
	global_load_dwordx2 v[86:87], v5, s[8:9]
	v_lshlrev_b32_e32 v5, 3, v25
	ds_read2_b32 v[108:109], v77 offset0:110 offset1:173
	ds_read2_b32 v[110:111], v16 offset0:108 offset1:171
	v_lshlrev_b32_e32 v21, 1, v64
	v_lshlrev_b32_e32 v13, 1, v52
	global_load_dwordx2 v[96:97], v5, s[8:9]
	v_lshlrev_b32_e32 v5, 3, v27
	v_lshlrev_b32_e32 v15, 1, v93
	;; [unrolled: 1-line block ×5, first 2 shown]
	global_load_dwordx2 v[98:99], v5, s[8:9]
	v_lshlrev_b32_e32 v5, 3, v29
	v_lshlrev_b32_e32 v22, 1, v63
	;; [unrolled: 1-line block ×5, first 2 shown]
	global_load_dwordx2 v[100:101], v5, s[8:9]
	v_and_or_b32 v5, 0x7c, v32, v1
	v_lshlrev_b32_e32 v18, 1, v51
	v_and_or_b32 v31, 0x1fc, v13, v1
	v_and_or_b32 v9, 0x1fc, v15, v9
	;; [unrolled: 1-line block ×11, first 2 shown]
	v_lshl_add_u32 v112, v33, 2, 0
	v_lshl_add_u32 v114, v35, 2, 0
	;; [unrolled: 1-line block ×8, first 2 shown]
	v_and_b32_e32 v61, 3, v61
	v_cmp_gt_u32_e64 s0, 9, v92
	v_and_or_b32 v24, 0x5f8, v24, v61
	s_waitcnt vmcnt(6) lgkmcnt(4)
	v_mul_f32_e32 v41, v102, v44
	s_waitcnt vmcnt(5)
	v_mul_f32_e32 v49, v103, v46
	v_mul_f32_e32 v69, v65, v44
	;; [unrolled: 1-line block ×4, first 2 shown]
	v_fmac_f32_e32 v41, v65, v43
	ds_read2_b32 v[64:65], v79 offset0:106 offset1:169
	v_fmac_f32_e32 v49, v66, v45
	v_lshl_add_u32 v66, v5, 2, 0
	v_fma_f32 v5, v103, v45, -v46
	s_waitcnt vmcnt(4) lgkmcnt(4)
	v_mul_f32_e32 v45, v105, v48
	v_mul_f32_e32 v46, v68, v48
	v_fma_f32 v48, v102, v43, -v69
	v_mul_f32_e32 v69, v104, v44
	v_fma_f32 v75, v104, v43, -v75
	v_fmac_f32_e32 v45, v68, v47
	v_fma_f32 v46, v105, v47, -v46
	s_waitcnt vmcnt(3) lgkmcnt(3)
	v_mul_f32_e32 v47, v107, v87
	v_mul_f32_e32 v68, v73, v87
	v_fmac_f32_e32 v69, v67, v43
	v_mul_f32_e32 v67, v106, v44
	s_waitcnt vmcnt(2) lgkmcnt(2)
	v_mul_f32_e32 v102, v109, v97
	v_mul_f32_e32 v97, v81, v97
	v_fmac_f32_e32 v47, v73, v86
	v_mul_f32_e32 v73, v108, v44
	v_mul_f32_e32 v87, v72, v44
	v_fma_f32 v68, v107, v86, -v68
	v_mul_f32_e32 v86, v80, v44
	v_fmac_f32_e32 v67, v72, v43
	s_waitcnt vmcnt(1) lgkmcnt(1)
	v_mul_f32_e32 v72, v111, v99
	v_mul_f32_e32 v99, v83, v99
	;; [unrolled: 1-line block ×4, first 2 shown]
	v_fmac_f32_e32 v102, v81, v96
	v_fma_f32 v81, v109, v96, -v97
	s_waitcnt lgkmcnt(0)
	v_mul_f32_e32 v96, v64, v44
	v_mul_f32_e32 v44, v84, v44
	v_fmac_f32_e32 v73, v80, v43
	s_waitcnt vmcnt(0)
	v_mul_f32_e32 v80, v65, v101
	v_fma_f32 v87, v106, v43, -v87
	v_fma_f32 v86, v108, v43, -v86
	v_fmac_f32_e32 v72, v83, v98
	v_fma_f32 v83, v111, v98, -v99
	v_fmac_f32_e32 v103, v82, v43
	v_fma_f32 v82, v110, v43, -v104
	ds_read_b32 v97, v89
	ds_read_b32 v98, v90
	;; [unrolled: 1-line block ×8, first 2 shown]
	v_mul_f32_e32 v101, v85, v101
	v_fmac_f32_e32 v96, v84, v43
	v_fma_f32 v43, v64, v43, -v44
	v_fmac_f32_e32 v80, v85, v100
	ds_read_b32 v44, v59
	ds_read_b32 v64, v10
	ds_read_b32 v84, v12
	ds_read_b32 v85, v14
	v_lshl_add_u32 v110, v31, 2, 0
	v_lshl_add_u32 v111, v9, 2, 0
	v_sub_f32_e32 v1, v0, v41
	v_sub_f32_e32 v9, v6, v45
	;; [unrolled: 1-line block ×10, first 2 shown]
	s_waitcnt lgkmcnt(11)
	v_sub_f32_e32 v45, v97, v48
	v_lshl_add_u32 v109, v3, 2, 0
	v_sub_f32_e32 v3, v2, v49
	s_waitcnt lgkmcnt(10)
	v_sub_f32_e32 v47, v98, v5
	v_sub_f32_e32 v7, v4, v69
	s_waitcnt lgkmcnt(9)
	v_sub_f32_e32 v48, v99, v75
	s_waitcnt lgkmcnt(8)
	;; [unrolled: 2-line block ×4, first 2 shown]
	v_sub_f32_e32 v72, v44, v82
	v_sub_f32_e32 v67, v106, v68
	;; [unrolled: 1-line block ×4, first 2 shown]
	s_waitcnt lgkmcnt(2)
	v_sub_f32_e32 v73, v64, v83
	v_fma_f32 v0, v0, 2.0, -v1
	v_fma_f32 v5, v6, 2.0, -v9
	;; [unrolled: 1-line block ×11, first 2 shown]
	s_waitcnt lgkmcnt(1)
	v_sub_f32_e32 v43, v84, v43
	v_fma_f32 v2, v2, 2.0, -v3
	v_fma_f32 v75, v98, 2.0, -v47
	v_fma_f32 v4, v4, 2.0, -v7
	v_fma_f32 v80, v99, 2.0, -v48
	v_fma_f32 v65, v65, v100, -v101
	v_fma_f32 v81, v104, 2.0, -v46
	v_fma_f32 v82, v105, 2.0, -v49
	;; [unrolled: 1-line block ×3, first 2 shown]
	s_waitcnt lgkmcnt(0)
	s_barrier
	buffer_gl0_inv
	v_fma_f32 v83, v106, 2.0, -v67
	v_fma_f32 v86, v107, 2.0, -v68
	;; [unrolled: 1-line block ×3, first 2 shown]
	ds_write2_b32 v66, v0, v1 offset1:2
	ds_write2_b32 v109, v2, v3 offset1:2
	;; [unrolled: 1-line block ×12, first 2 shown]
	s_waitcnt lgkmcnt(0)
	s_barrier
	buffer_gl0_inv
	ds_read_b32 v31, v89
	ds_read_b32 v33, v90
	;; [unrolled: 1-line block ×12, first 2 shown]
	ds_read2_b32 v[6:7], v76 offset0:116 offset1:179
	ds_read2_b32 v[40:41], v74 offset0:114 offset1:177
	;; [unrolled: 1-line block ×6, first 2 shown]
	s_waitcnt lgkmcnt(0)
	s_barrier
	buffer_gl0_inv
	ds_write2_b32 v66, v42, v45 offset1:2
	ds_write2_b32 v109, v75, v47 offset1:2
	;; [unrolled: 1-line block ×8, first 2 shown]
	v_fma_f32 v45, v64, 2.0, -v73
	v_fma_f32 v46, v84, 2.0, -v43
	v_sub_f32_e32 v42, v85, v65
	v_and_b32_e32 v69, 3, v52
	ds_write2_b32 v116, v44, v72 offset1:2
	ds_write2_b32 v117, v45, v73 offset1:2
	;; [unrolled: 1-line block ×3, first 2 shown]
	v_and_b32_e32 v72, 3, v93
	v_and_b32_e32 v75, 3, v53
	v_fma_f32 v47, v85, 2.0, -v42
	v_lshlrev_b32_e32 v43, 3, v69
	v_and_b32_e32 v86, 3, v50
	v_lshlrev_b32_e32 v44, 3, v72
	v_lshlrev_b32_e32 v46, 3, v75
	ds_write2_b32 v119, v47, v42 offset1:2
	s_waitcnt lgkmcnt(0)
	s_barrier
	buffer_gl0_inv
	s_clause 0x1
	global_load_dwordx2 v[42:43], v43, s[8:9] offset:16
	global_load_dwordx2 v[44:45], v44, s[8:9] offset:16
	v_lshlrev_b32_e32 v48, 3, v86
	s_clause 0x1
	global_load_dwordx2 v[46:47], v46, s[8:9] offset:16
	global_load_dwordx2 v[48:49], v48, s[8:9] offset:16
	v_and_b32_e32 v87, 3, v88
	v_and_b32_e32 v97, 3, v92
	v_and_b32_e32 v96, 3, v63
	v_and_b32_e32 v98, 3, v51
	v_and_b32_e32 v99, 3, v62
	v_lshlrev_b32_e32 v63, 3, v87
	v_lshlrev_b32_e32 v65, 3, v97
	;; [unrolled: 1-line block ×4, first 2 shown]
	s_clause 0x3
	global_load_dwordx2 v[63:64], v63, s[8:9] offset:16
	global_load_dwordx2 v[65:66], v65, s[8:9] offset:16
	;; [unrolled: 1-line block ×4, first 2 shown]
	v_lshlrev_b32_e32 v62, 3, v99
	v_lshlrev_b32_e32 v73, 3, v61
	s_clause 0x1
	global_load_dwordx2 v[82:83], v62, s[8:9] offset:16
	global_load_dwordx2 v[84:85], v73, s[8:9] offset:16
	v_and_or_b32 v13, 0x1f8, v13, v69
	v_and_or_b32 v15, 0x1f8, v15, v72
	;; [unrolled: 1-line block ×4, first 2 shown]
	ds_read2_b32 v[17:18], v74 offset0:114 offset1:177
	v_and_or_b32 v11, 0xf8, v11, v87
	v_and_or_b32 v87, 0x3f8, v19, v75
	;; [unrolled: 1-line block ×3, first 2 shown]
	ds_read2_b32 v[19:20], v77 offset0:110 offset1:173
	v_and_or_b32 v100, 0x78, v32, v97
	v_and_or_b32 v21, 0x7f8, v21, v97
	v_and_or_b32 v22, 0x4f8, v22, v96
	v_and_or_b32 v23, 0x5f8, v23, v99
	v_lshl_add_u32 v98, v15, 2, 0
	v_lshl_add_u32 v97, v100, 2, 0
	;; [unrolled: 1-line block ×10, first 2 shown]
	ds_read2_b32 v[21:22], v76 offset0:116 offset1:179
	ds_read2_b32 v[23:24], v78 offset0:112 offset1:175
	;; [unrolled: 1-line block ×4, first 2 shown]
	ds_read_b32 v12, v12
	ds_read_b32 v14, v14
	;; [unrolled: 1-line block ×4, first 2 shown]
	v_and_b32_e32 v62, 7, v88
	v_and_b32_e32 v73, 7, v52
	v_lshl_add_u32 v11, v11, 2, 0
	v_add_nc_u32_e32 v75, 0x800, v89
	v_lshl_add_u32 v13, v13, 2, 0
	v_lshlrev_b32_e32 v61, 4, v62
	v_lshlrev_b32_e32 v96, 4, v73
	s_waitcnt vmcnt(9) lgkmcnt(9)
	v_mul_f32_e32 v72, v17, v43
	v_mul_f32_e32 v43, v40, v43
	s_waitcnt vmcnt(8)
	v_mul_f32_e32 v107, v18, v45
	v_mul_f32_e32 v45, v41, v45
	v_fmac_f32_e32 v72, v40, v42
	v_fma_f32 v17, v17, v42, -v43
	s_waitcnt vmcnt(6) lgkmcnt(8)
	v_mul_f32_e32 v42, v20, v49
	v_mul_f32_e32 v108, v19, v47
	;; [unrolled: 1-line block ×3, first 2 shown]
	v_fmac_f32_e32 v107, v41, v44
	v_fma_f32 v18, v18, v44, -v45
	v_fmac_f32_e32 v42, v9, v48
	v_mul_f32_e32 v9, v9, v49
	v_fmac_f32_e32 v108, v8, v46
	v_fma_f32 v8, v19, v46, -v40
	ds_read_b32 v19, v89
	ds_read_b32 v40, v90
	;; [unrolled: 1-line block ×8, first 2 shown]
	s_waitcnt vmcnt(5) lgkmcnt(15)
	v_mul_f32_e32 v49, v22, v64
	v_fma_f32 v9, v20, v48, -v9
	v_mul_f32_e32 v20, v7, v64
	s_waitcnt vmcnt(4)
	v_mul_f32_e32 v48, v21, v66
	v_mul_f32_e32 v64, v6, v66
	s_waitcnt vmcnt(2) lgkmcnt(14)
	v_mul_f32_e32 v109, v24, v81
	v_fmac_f32_e32 v49, v7, v63
	v_fma_f32 v7, v22, v63, -v20
	v_mul_f32_e32 v20, v5, v81
	v_mul_f32_e32 v22, v23, v66
	v_fmac_f32_e32 v48, v6, v65
	v_mul_f32_e32 v6, v4, v66
	s_waitcnt lgkmcnt(13)
	v_mul_f32_e32 v63, v15, v66
	v_fma_f32 v21, v21, v65, -v64
	v_mul_f32_e32 v64, v2, v66
	v_mul_f32_e32 v66, v16, v68
	v_fmac_f32_e32 v109, v5, v80
	v_fma_f32 v5, v24, v80, -v20
	v_mul_f32_e32 v20, v3, v68
	s_waitcnt vmcnt(1) lgkmcnt(12)
	v_mul_f32_e32 v24, v86, v83
	v_fmac_f32_e32 v22, v4, v65
	v_mul_f32_e32 v4, v0, v83
	s_waitcnt vmcnt(0)
	v_mul_f32_e32 v68, v87, v85
	v_fma_f32 v6, v23, v65, -v6
	v_mul_f32_e32 v23, v1, v85
	v_fmac_f32_e32 v63, v2, v65
	v_fma_f32 v2, v15, v65, -v64
	v_fmac_f32_e32 v66, v3, v67
	v_fma_f32 v3, v16, v67, -v20
	;; [unrolled: 2-line block ×4, first 2 shown]
	v_sub_f32_e32 v4, v31, v48
	s_waitcnt lgkmcnt(7)
	v_sub_f32_e32 v21, v19, v21
	v_sub_f32_e32 v15, v33, v49
	s_waitcnt lgkmcnt(6)
	v_sub_f32_e32 v7, v40, v7
	;; [unrolled: 3-line block ×4, first 2 shown]
	v_sub_f32_e32 v22, v38, v22
	v_sub_f32_e32 v23, v39, v109
	s_waitcnt lgkmcnt(3)
	v_sub_f32_e32 v6, v44, v6
	v_sub_f32_e32 v48, v25, v108
	;; [unrolled: 1-line block ×7, first 2 shown]
	s_waitcnt lgkmcnt(2)
	v_sub_f32_e32 v5, v45, v5
	s_waitcnt lgkmcnt(1)
	v_sub_f32_e32 v8, v46, v8
	;; [unrolled: 2-line block ×3, first 2 shown]
	v_sub_f32_e32 v2, v69, v2
	v_sub_f32_e32 v3, v10, v3
	v_sub_f32_e32 v0, v12, v0
	v_sub_f32_e32 v1, v14, v1
	v_fma_f32 v31, v31, 2.0, -v4
	v_fma_f32 v19, v19, 2.0, -v21
	v_fma_f32 v33, v33, 2.0, -v15
	v_fma_f32 v82, v40, 2.0, -v7
	v_fma_f32 v34, v34, 2.0, -v16
	v_fma_f32 v83, v41, 2.0, -v17
	v_fma_f32 v35, v35, 2.0, -v20
	v_fma_f32 v84, v43, 2.0, -v18
	v_fma_f32 v38, v38, 2.0, -v22
	v_fma_f32 v39, v39, 2.0, -v23
	v_fma_f32 v85, v44, 2.0, -v6
	s_barrier
	buffer_gl0_inv
	v_fma_f32 v25, v25, 2.0, -v48
	v_fma_f32 v26, v26, 2.0, -v42
	v_fma_f32 v27, v27, 2.0, -v49
	v_fma_f32 v28, v28, 2.0, -v63
	v_fma_f32 v29, v29, 2.0, -v24
	v_fma_f32 v30, v30, 2.0, -v64
	v_fma_f32 v86, v45, 2.0, -v5
	v_fma_f32 v87, v46, 2.0, -v8
	v_fma_f32 v107, v47, 2.0, -v9
	v_fma_f32 v108, v69, 2.0, -v2
	v_fma_f32 v10, v10, 2.0, -v3
	v_fma_f32 v12, v12, 2.0, -v0
	v_fma_f32 v14, v14, 2.0, -v1
	ds_write2_b32 v97, v31, v4 offset1:4
	ds_write2_b32 v11, v33, v15 offset1:4
	;; [unrolled: 1-line block ×12, first 2 shown]
	s_waitcnt lgkmcnt(0)
	s_barrier
	buffer_gl0_inv
	ds_read_b32 v68, v89
	ds_read2_b32 v[33:34], v74 offset0:177 offset1:240
	ds_read2_b32 v[46:47], v75 offset0:55 offset1:118
	ds_read_b32 v67, v60
	ds_read_b32 v66, v55
	;; [unrolled: 1-line block ×8, first 2 shown]
	ds_read_b32 v80, v89 offset:5796
	ds_read2_b32 v[48:49], v77 offset0:47 offset1:110
	ds_read2_b32 v[44:45], v75 offset0:181 offset1:244
	;; [unrolled: 1-line block ×5, first 2 shown]
	s_waitcnt lgkmcnt(0)
	s_barrier
	buffer_gl0_inv
	ds_write2_b32 v97, v19, v21 offset1:4
	ds_write2_b32 v11, v82, v7 offset1:4
	;; [unrolled: 1-line block ×12, first 2 shown]
	s_waitcnt lgkmcnt(0)
	s_barrier
	buffer_gl0_inv
	s_clause 0x1
	global_load_dwordx4 v[4:7], v61, s[8:9] offset:48
	global_load_dwordx4 v[0:3], v96, s[8:9] offset:48
	v_and_b32_e32 v82, 7, v93
	v_and_b32_e32 v83, 7, v54
	;; [unrolled: 1-line block ×5, first 2 shown]
	v_lshlrev_b32_e32 v8, 4, v82
	v_lshlrev_b32_e32 v9, 4, v83
	s_clause 0x1
	global_load_dwordx4 v[12:15], v8, s[8:9] offset:48
	global_load_dwordx4 v[8:11], v9, s[8:9] offset:48
	v_lshlrev_b32_e32 v16, 4, v96
	v_lshlrev_b32_e32 v17, 4, v97
	v_and_b32_e32 v98, 7, v50
	v_lshrrev_b32_e32 v85, 3, v88
	v_lshrrev_b32_e32 v84, 3, v92
	s_clause 0x1
	global_load_dwordx4 v[28:31], v16, s[8:9] offset:48
	global_load_dwordx4 v[24:27], v17, s[8:9] offset:48
	v_lshlrev_b32_e32 v16, 4, v63
	v_and_b32_e32 v103, 0xff, v88
	v_lshrrev_b32_e32 v86, 3, v52
	v_lshrrev_b32_e32 v87, 3, v93
	;; [unrolled: 1-line block ×3, first 2 shown]
	global_load_dwordx4 v[20:23], v16, s[8:9] offset:48
	v_lshlrev_b32_e32 v16, 4, v98
	v_lshrrev_b32_e32 v100, 3, v51
	v_lshrrev_b32_e32 v101, 3, v53
	v_mul_lo_u32 v85, v85, 24
	v_mul_u32_u24_e32 v84, 24, v84
	global_load_dwordx4 v[16:19], v16, s[8:9] offset:48
	v_mul_lo_u16 v103, 0xab, v103
	v_lshrrev_b32_e32 v102, 3, v50
	v_mul_lo_u32 v86, v86, 24
	v_mul_lo_u32 v87, v87, 24
	;; [unrolled: 1-line block ×5, first 2 shown]
	v_or_b32_e32 v104, v84, v63
	v_lshrrev_b16 v63, 12, v103
	v_or_b32_e32 v62, v85, v62
	ds_read2_b32 v[84:85], v75 offset0:55 offset1:118
	v_mul_lo_u32 v102, v102, 24
	v_or_b32_e32 v73, v86, v73
	v_or_b32_e32 v82, v87, v82
	ds_read2_b32 v[86:87], v77 offset0:47 offset1:110
	v_or_b32_e32 v83, v99, v83
	v_or_b32_e32 v96, v100, v96
	;; [unrolled: 1-line block ×3, first 2 shown]
	v_mul_lo_u16 v99, v63, 24
	v_or_b32_e32 v98, v102, v98
	v_lshl_add_u32 v100, v104, 2, 0
	v_lshl_add_u32 v101, v62, 2, 0
	;; [unrolled: 1-line block ×3, first 2 shown]
	v_sub_nc_u16 v62, v88, v99
	v_lshl_add_u32 v99, v83, 2, 0
	v_lshl_add_u32 v103, v96, 2, 0
	;; [unrolled: 1-line block ×3, first 2 shown]
	ds_read2_b32 v[82:83], v75 offset0:181 offset1:244
	ds_read2_b32 v[96:97], v77 offset0:173 offset1:236
	v_mov_b32_e32 v61, 4
	v_lshl_add_u32 v73, v73, 2, 0
	v_lshl_add_u32 v98, v98, 2, 0
	v_lshlrev_b32_sdwa v105, v61, v62 dst_sel:DWORD dst_unused:UNUSED_PAD src0_sel:DWORD src1_sel:BYTE_0
	s_waitcnt vmcnt(7) lgkmcnt(3)
	v_mul_f32_e32 v106, v84, v5
	v_mul_f32_e32 v5, v46, v5
	s_waitcnt vmcnt(6)
	v_mul_f32_e32 v108, v85, v1
	v_mul_f32_e32 v1, v47, v1
	s_waitcnt lgkmcnt(2)
	v_mul_f32_e32 v107, v86, v7
	v_mul_f32_e32 v7, v48, v7
	v_fmac_f32_e32 v106, v46, v4
	v_fma_f32 v46, v84, v4, -v5
	v_mul_f32_e32 v84, v87, v3
	v_fmac_f32_e32 v108, v47, v0
	v_fma_f32 v47, v85, v0, -v1
	;; [unrolled: 3-line block ×3, first 2 shown]
	ds_read2_b32 v[4:5], v74 offset0:51 offset1:114
	ds_read2_b32 v[6:7], v79 offset0:43 offset1:106
	v_fmac_f32_e32 v84, v49, v2
	s_waitcnt vmcnt(5) lgkmcnt(3)
	v_mul_f32_e32 v49, v82, v13
	v_fma_f32 v2, v87, v2, -v0
	v_mul_f32_e32 v0, v44, v13
	s_waitcnt lgkmcnt(2)
	v_mul_f32_e32 v13, v96, v15
	v_mul_f32_e32 v1, v42, v15
	ds_read_b32 v3, v59
	ds_read_b32 v85, v58
	v_fmac_f32_e32 v49, v44, v12
	v_fma_f32 v12, v82, v12, -v0
	v_fmac_f32_e32 v13, v42, v14
	v_fma_f32 v14, v96, v14, -v1
	ds_read2_b32 v[0:1], v74 offset0:177 offset1:240
	s_waitcnt vmcnt(4)
	v_mul_f32_e32 v15, v83, v9
	v_mul_f32_e32 v9, v45, v9
	;; [unrolled: 1-line block ×4, first 2 shown]
	v_fmac_f32_e32 v15, v45, v8
	v_fma_f32 v8, v83, v8, -v9
	ds_read_b32 v9, v60
	ds_read_b32 v82, v55
	ds_read_b32 v83, v56
	ds_read_b32 v86, v57
	v_fmac_f32_e32 v42, v43, v10
	ds_read_b32 v87, v91
	ds_read_b32 v96, v90
	v_fma_f32 v10, v97, v10, -v11
	ds_read_b32 v11, v89 offset:5796
	ds_read_b32 v97, v89
	s_waitcnt vmcnt(3) lgkmcnt(12)
	v_mul_f32_e32 v43, v4, v29
	v_mul_f32_e32 v29, v40, v29
	s_waitcnt lgkmcnt(11)
	v_mul_f32_e32 v44, v6, v31
	v_mul_f32_e32 v31, v38, v31
	s_waitcnt vmcnt(2)
	v_mul_f32_e32 v45, v5, v25
	v_mul_f32_e32 v25, v41, v25
	v_fma_f32 v4, v4, v28, -v29
	v_fmac_f32_e32 v44, v38, v30
	v_fma_f32 v6, v6, v30, -v31
	s_waitcnt vmcnt(1) lgkmcnt(10)
	v_mul_f32_e32 v29, v3, v21
	s_waitcnt lgkmcnt(8)
	v_mul_f32_e32 v30, v1, v23
	v_fmac_f32_e32 v45, v41, v24
	v_mul_f32_e32 v21, v81, v21
	v_fma_f32 v5, v5, v24, -v25
	v_mul_f32_e32 v23, v34, v23
	s_waitcnt vmcnt(0)
	v_mul_f32_e32 v24, v0, v17
	v_mul_f32_e32 v17, v33, v17
	v_fmac_f32_e32 v29, v81, v20
	v_fmac_f32_e32 v30, v34, v22
	;; [unrolled: 1-line block ×3, first 2 shown]
	v_mul_f32_e32 v28, v7, v27
	s_waitcnt lgkmcnt(1)
	v_mul_f32_e32 v25, v11, v19
	v_mul_f32_e32 v27, v39, v27
	;; [unrolled: 1-line block ×3, first 2 shown]
	v_fma_f32 v3, v3, v20, -v21
	v_fma_f32 v1, v1, v22, -v23
	v_fmac_f32_e32 v24, v33, v16
	v_fma_f32 v0, v0, v16, -v17
	v_add_f32_e32 v16, v29, v30
	v_add_f32_e32 v22, v108, v84
	v_fmac_f32_e32 v28, v39, v26
	v_fmac_f32_e32 v25, v80, v18
	v_add_f32_e32 v17, v68, v29
	v_add_f32_e32 v23, v69, v108
	v_fma_f32 v7, v7, v26, -v27
	v_fma_f32 v11, v11, v18, -v19
	v_sub_f32_e32 v18, v3, v1
	v_add_f32_e32 v20, v72, v106
	v_add_f32_e32 v27, v49, v13
	;; [unrolled: 1-line block ×6, first 2 shown]
	v_fmac_f32_e32 v68, -0.5, v16
	s_waitcnt lgkmcnt(0)
	v_add_f32_e32 v16, v97, v3
	v_add_f32_e32 v3, v3, v1
	;; [unrolled: 1-line block ×3, first 2 shown]
	v_fmac_f32_e32 v69, -0.5, v22
	v_add_f32_e32 v22, v46, v48
	v_add_f32_e32 v81, v45, v28
	v_sub_f32_e32 v29, v29, v30
	v_add_f32_e32 v17, v17, v30
	v_add_f32_e32 v30, v24, v25
	v_sub_f32_e32 v108, v108, v84
	;; [unrolled: 3-line block ×3, first 2 shown]
	v_sub_f32_e32 v39, v8, v10
	v_add_f32_e32 v41, v65, v43
	v_sub_f32_e32 v80, v4, v6
	v_sub_f32_e32 v110, v5, v7
	;; [unrolled: 1-line block ×3, first 2 shown]
	v_add_f32_e32 v20, v20, v107
	v_sub_f32_e32 v107, v0, v11
	v_sub_f32_e32 v49, v49, v13
	;; [unrolled: 1-line block ×3, first 2 shown]
	v_fmac_f32_e32 v67, -0.5, v27
	v_add_f32_e32 v27, v9, v12
	v_add_f32_e32 v12, v12, v14
	;; [unrolled: 1-line block ×5, first 2 shown]
	v_fmac_f32_e32 v66, -0.5, v34
	v_add_f32_e32 v34, v83, v4
	v_add_f32_e32 v4, v4, v6
	;; [unrolled: 1-line block ×5, first 2 shown]
	v_fmac_f32_e32 v65, -0.5, v40
	v_add_f32_e32 v40, v85, v0
	v_add_f32_e32 v0, v0, v11
	v_fmac_f32_e32 v97, -0.5, v3
	v_sub_f32_e32 v21, v46, v48
	v_fmac_f32_e32 v72, -0.5, v19
	v_add_f32_e32 v46, v96, v46
	v_fmac_f32_e32 v96, -0.5, v22
	v_sub_f32_e32 v26, v47, v2
	v_add_f32_e32 v109, v35, v45
	v_add_f32_e32 v19, v64, v24
	;; [unrolled: 1-line block ×3, first 2 shown]
	v_fmac_f32_e32 v35, -0.5, v81
	v_fmac_f32_e32 v64, -0.5, v30
	v_fmac_f32_e32 v87, -0.5, v84
	v_sub_f32_e32 v43, v43, v44
	v_sub_f32_e32 v45, v45, v28
	;; [unrolled: 1-line block ×3, first 2 shown]
	v_add_f32_e32 v1, v16, v1
	v_fmac_f32_e32 v9, -0.5, v12
	v_fmac_f32_e32 v82, -0.5, v8
	;; [unrolled: 1-line block ×5, first 2 shown]
	v_fmamk_f32 v0, v18, 0xbf5db3d7, v68
	v_fmamk_f32 v22, v29, 0x3f5db3d7, v97
	v_fmac_f32_e32 v68, 0x3f5db3d7, v18
	v_fmac_f32_e32 v97, 0xbf5db3d7, v29
	v_add_f32_e32 v16, v46, v48
	v_add_f32_e32 v4, v42, v7
	;; [unrolled: 1-line block ×3, first 2 shown]
	v_fmamk_f32 v7, v21, 0xbf5db3d7, v72
	v_fmamk_f32 v11, v33, 0xbf5db3d7, v67
	v_fmac_f32_e32 v67, 0x3f5db3d7, v33
	v_fmamk_f32 v33, v106, 0x3f5db3d7, v96
	v_fmac_f32_e32 v72, 0x3f5db3d7, v21
	v_fmac_f32_e32 v96, 0xbf5db3d7, v106
	v_add_f32_e32 v41, v41, v44
	v_add_f32_e32 v28, v109, v28
	;; [unrolled: 1-line block ×4, first 2 shown]
	v_fmamk_f32 v8, v26, 0xbf5db3d7, v69
	v_fmamk_f32 v18, v80, 0xbf5db3d7, v65
	v_fmac_f32_e32 v65, 0x3f5db3d7, v80
	v_fmamk_f32 v19, v110, 0xbf5db3d7, v35
	v_fmac_f32_e32 v35, 0x3f5db3d7, v110
	;; [unrolled: 2-line block ×3, first 2 shown]
	v_fmamk_f32 v80, v108, 0x3f5db3d7, v87
	s_barrier
	buffer_gl0_inv
	v_add_f32_e32 v14, v27, v14
	v_add_f32_e32 v10, v31, v10
	;; [unrolled: 1-line block ×3, first 2 shown]
	v_fmac_f32_e32 v69, 0x3f5db3d7, v26
	v_fmamk_f32 v12, v39, 0xbf5db3d7, v66
	v_fmac_f32_e32 v66, 0x3f5db3d7, v39
	v_fmac_f32_e32 v87, 0xbf5db3d7, v108
	v_fmamk_f32 v81, v49, 0x3f5db3d7, v9
	v_fmac_f32_e32 v9, 0xbf5db3d7, v49
	v_fmamk_f32 v84, v15, 0x3f5db3d7, v82
	;; [unrolled: 2-line block ×5, first 2 shown]
	v_fmac_f32_e32 v85, 0xbf5db3d7, v24
	ds_write2_b32 v100, v17, v0 offset1:8
	ds_write_b32 v100, v68 offset:64
	ds_write2_b32 v101, v20, v7 offset1:8
	ds_write_b32 v101, v72 offset:64
	ds_write2_b32 v73, v23, v8 offset1:8
	ds_write_b32 v73, v69 offset:64
	ds_write2_b32 v102, v13, v11 offset1:8
	ds_write_b32 v102, v67 offset:64
	ds_write2_b32 v99, v38, v12 offset1:8
	ds_write_b32 v99, v66 offset:64
	ds_write2_b32 v103, v41, v18 offset1:8
	ds_write_b32 v103, v65 offset:64
	ds_write2_b32 v104, v28, v19 offset1:8
	ds_write_b32 v104, v35 offset:64
	ds_write2_b32 v98, v3, v21 offset1:8
	ds_write_b32 v98, v64 offset:64
	s_waitcnt lgkmcnt(0)
	s_barrier
	buffer_gl0_inv
	ds_read_b32 v47, v89
	ds_read_b32 v46, v60
	;; [unrolled: 1-line block ×9, first 2 shown]
	ds_read_b32 v64, v89 offset:5796
	ds_read2_b32 v[24:25], v74 offset0:177 offset1:240
	ds_read2_b32 v[40:41], v75 offset0:55 offset1:118
	;; [unrolled: 1-line block ×7, first 2 shown]
	s_waitcnt lgkmcnt(0)
	s_barrier
	buffer_gl0_inv
	ds_write2_b32 v100, v1, v22 offset1:8
	ds_write_b32 v100, v97 offset:64
	ds_write2_b32 v101, v16, v33 offset1:8
	ds_write_b32 v101, v96 offset:64
	;; [unrolled: 2-line block ×8, first 2 shown]
	s_waitcnt lgkmcnt(0)
	s_barrier
	buffer_gl0_inv
	global_load_dwordx4 v[16:19], v105, s[8:9] offset:176
	v_and_b32_e32 v69, 0xff, v52
	v_mov_b32_e32 v8, 0xaaab
	v_and_b32_e32 v10, 0xff, v92
	v_and_b32_e32 v80, 0xff, v93
	ds_read2_b32 v[108:109], v75 offset0:55 offset1:118
	v_mul_lo_u16 v0, 0xab, v69
	v_mul_u32_u24_sdwa v1, v54, v8 dst_sel:DWORD dst_unused:UNUSED_PAD src0_sel:WORD_0 src1_sel:DWORD
	v_mul_u32_u24_sdwa v5, v51, v8 dst_sel:DWORD dst_unused:UNUSED_PAD src0_sel:WORD_0 src1_sel:DWORD
	ds_read2_b32 v[110:111], v77 offset0:47 offset1:110
	v_lshrrev_b16 v68, 12, v0
	v_lshrrev_b32_e32 v83, 20, v1
	v_lshrrev_b32_e32 v96, 20, v5
	v_mul_lo_u16 v0, v68, 24
	v_mul_lo_u16 v4, v83, 24
	;; [unrolled: 1-line block ×3, first 2 shown]
	v_mul_u32_u24_e32 v96, 0x120, v96
	v_mul_u32_u24_e32 v83, 0x120, v83
	v_sub_nc_u16 v67, v52, v0
	v_sub_nc_u16 v87, v54, v4
	;; [unrolled: 1-line block ×3, first 2 shown]
	v_mul_u32_u24_sdwa v4, v53, v8 dst_sel:DWORD dst_unused:UNUSED_PAD src0_sel:WORD_0 src1_sel:DWORD
	v_mul_lo_u16 v9, 0xab, v10
	v_lshlrev_b32_sdwa v0, v61, v67 dst_sel:DWORD dst_unused:UNUSED_PAD src0_sel:DWORD src1_sel:BYTE_0
	v_lshlrev_b32_sdwa v5, v61, v87 dst_sel:DWORD dst_unused:UNUSED_PAD src0_sel:DWORD src1_sel:WORD_0
	v_lshlrev_b32_sdwa v10, v61, v100 dst_sel:DWORD dst_unused:UNUSED_PAD src0_sel:DWORD src1_sel:WORD_0
	v_lshrrev_b32_e32 v97, 20, v4
	v_lshrrev_b16 v103, 12, v9
	v_mul_u32_u24_sdwa v8, v50, v8 dst_sel:DWORD dst_unused:UNUSED_PAD src0_sel:WORD_0 src1_sel:DWORD
	s_clause 0x2
	global_load_dwordx4 v[4:7], v5, s[8:9] offset:176
	global_load_dwordx4 v[20:23], v10, s[8:9] offset:176
	;; [unrolled: 1-line block ×3, first 2 shown]
	v_mul_lo_u16 v0, 0xab, v80
	v_mul_lo_u16 v11, v97, 24
	v_lshrrev_b32_e32 v102, 20, v8
	v_mul_u32_u24_e32 v97, 0x120, v97
	v_mul_lo_u16 v80, v80, 57
	v_lshrrev_b16 v73, 12, v0
	v_sub_nc_u16 v98, v53, v11
	v_mul_lo_u16 v8, v102, 24
	v_mul_u32_u24_e32 v102, 0x120, v102
	v_mul_lo_u16 v0, v73, 24
	v_lshlrev_b32_sdwa v9, v61, v98 dst_sel:DWORD dst_unused:UNUSED_PAD src0_sel:DWORD src1_sel:WORD_0
	v_sub_nc_u16 v99, v50, v8
	v_sub_nc_u16 v82, v93, v0
	global_load_dwordx4 v[12:15], v9, s[8:9] offset:176
	v_mul_lo_u16 v9, v103, 24
	v_lshlrev_b32_sdwa v33, v61, v99 dst_sel:DWORD dst_unused:UNUSED_PAD src0_sel:DWORD src1_sel:WORD_0
	v_lshlrev_b32_sdwa v0, v61, v82 dst_sel:DWORD dst_unused:UNUSED_PAD src0_sel:DWORD src1_sel:BYTE_0
	v_sub_nc_u16 v101, v92, v9
	global_load_dwordx4 v[0:3], v0, s[8:9] offset:176
	v_lshlrev_b32_sdwa v9, v61, v101 dst_sel:DWORD dst_unused:UNUSED_PAD src0_sel:DWORD src1_sel:BYTE_0
	global_load_dwordx4 v[8:11], v9, s[8:9] offset:176
	s_waitcnt vmcnt(6) lgkmcnt(1)
	v_mul_f32_e32 v84, v108, v17
	v_mul_f32_e32 v17, v40, v17
	s_waitcnt lgkmcnt(0)
	v_mul_f32_e32 v85, v110, v19
	v_mul_f32_e32 v19, v38, v19
	v_fmac_f32_e32 v84, v40, v16
	v_fma_f32 v81, v108, v16, -v17
	v_fmac_f32_e32 v85, v38, v18
	v_fma_f32 v72, v110, v18, -v19
	global_load_dwordx4 v[16:19], v33, s[8:9] offset:176
	v_add_nc_u32_e32 v38, -9, v92
	v_mov_b32_e32 v33, 0
	v_mov_b32_e32 v110, 0xe38f
	v_cndmask_b32_e64 v66, v38, v88, s0
	s_waitcnt vmcnt(4)
	v_mul_f32_e32 v108, v111, v107
	v_mul_f32_e32 v38, v39, v107
	v_mov_b32_e32 v107, 0x120
	v_mul_f32_e32 v86, v109, v105
	v_mul_f32_e32 v40, v41, v105
	v_fmac_f32_e32 v108, v39, v106
	v_fma_f32 v39, v111, v106, -v38
	ds_read2_b32 v[105:106], v77 offset0:173 offset1:236
	v_mul_lo_u16 v111, v69, 57
	v_mul_u32_u24_sdwa v113, v68, v107 dst_sel:DWORD dst_unused:UNUSED_PAD src0_sel:WORD_0 src1_sel:DWORD
	ds_read2_b32 v[68:69], v75 offset0:181 offset1:244
	v_fmac_f32_e32 v86, v41, v104
	v_fma_f32 v109, v109, v104, -v40
	v_lshlrev_b64 v[40:41], 3, v[32:33]
	v_lshlrev_b32_e32 v32, 1, v66
	v_mov_b32_e32 v38, 2
	v_mul_u32_u24_sdwa v112, v103, v107 dst_sel:DWORD dst_unused:UNUSED_PAD src0_sel:WORD_0 src1_sel:DWORD
	v_mul_u32_u24_sdwa v63, v63, v107 dst_sel:DWORD dst_unused:UNUSED_PAD src0_sel:WORD_0 src1_sel:DWORD
	v_lshlrev_b64 v[32:33], 3, v[32:33]
	v_lshlrev_b32_sdwa v62, v38, v62 dst_sel:DWORD dst_unused:UNUSED_PAD src0_sel:DWORD src1_sel:BYTE_0
	v_lshlrev_b32_sdwa v67, v38, v67 dst_sel:DWORD dst_unused:UNUSED_PAD src0_sel:DWORD src1_sel:BYTE_0
	;; [unrolled: 1-line block ×3, first 2 shown]
	v_lshlrev_b32_sdwa v98, v38, v98 dst_sel:DWORD dst_unused:UNUSED_PAD src0_sel:DWORD src1_sel:WORD_0
	v_lshlrev_b32_sdwa v100, v38, v100 dst_sel:DWORD dst_unused:UNUSED_PAD src0_sel:DWORD src1_sel:WORD_0
	v_add_co_u32 v103, s0, s8, v32
	v_add_co_ci_u32_e64 v104, s0, s9, v33, s0
	v_mul_u32_u24_sdwa v33, v73, v107 dst_sel:DWORD dst_unused:UNUSED_PAD src0_sel:WORD_0 src1_sel:DWORD
	v_add3_u32 v62, 0, v63, v62
	v_add3_u32 v63, 0, v113, v67
	s_waitcnt vmcnt(2) lgkmcnt(1)
	v_mul_f32_e32 v67, v105, v3
	v_mul_f32_e32 v3, v30, v3
	v_add3_u32 v82, 0, v33, v82
	s_waitcnt lgkmcnt(0)
	v_mul_f32_e32 v33, v68, v1
	v_mul_f32_e32 v1, v34, v1
	v_fmac_f32_e32 v67, v30, v2
	v_fma_f32 v30, v105, v2, -v3
	ds_read2_b32 v[2:3], v79 offset0:43 offset1:106
	v_fmac_f32_e32 v33, v34, v0
	v_fma_f32 v34, v68, v0, -v1
	v_lshlrev_b32_sdwa v68, v38, v99 dst_sel:DWORD dst_unused:UNUSED_PAD src0_sel:DWORD src1_sel:WORD_0
	ds_read2_b32 v[0:1], v74 offset0:51 offset1:114
	v_mul_f32_e32 v99, v69, v5
	v_add3_u32 v97, 0, v97, v98
	v_mul_f32_e32 v5, v35, v5
	v_add3_u32 v98, 0, v102, v68
	;; [unrolled: 2-line block ×3, first 2 shown]
	v_fmac_f32_e32 v99, v35, v4
	v_mul_f32_e32 v7, v31, v7
	v_fma_f32 v35, v69, v4, -v5
	ds_read_b32 v69, v59
	ds_read_b32 v100, v58
	v_fmac_f32_e32 v68, v31, v6
	ds_read2_b32 v[4:5], v74 offset0:177 offset1:240
	ds_read_b32 v31, v89 offset:5796
	v_fma_f32 v6, v106, v6, -v7
	v_add_f32_e32 v107, v45, v99
	v_lshrrev_b16 v32, 12, v111
	s_waitcnt lgkmcnt(5)
	v_mul_f32_e32 v102, v2, v23
	v_mul_f32_e32 v23, v26, v23
	v_add_f32_e32 v106, v99, v68
	v_sub_f32_e32 v99, v99, v68
	s_waitcnt lgkmcnt(4)
	v_mul_f32_e32 v7, v0, v21
	v_mul_f32_e32 v21, v28, v21
	;; [unrolled: 1-line block ×4, first 2 shown]
	v_fmac_f32_e32 v102, v26, v22
	v_mul_f32_e32 v26, v3, v15
	v_mul_f32_e32 v15, v27, v15
	v_fmac_f32_e32 v7, v28, v20
	v_fma_f32 v0, v0, v20, -v21
	v_fma_f32 v2, v2, v22, -v23
	ds_read_b32 v20, v60
	ds_read_b32 v21, v55
	;; [unrolled: 1-line block ×4, first 2 shown]
	v_fmac_f32_e32 v105, v29, v12
	v_fma_f32 v1, v1, v12, -v13
	ds_read_b32 v12, v91
	ds_read_b32 v13, v90
	;; [unrolled: 1-line block ×3, first 2 shown]
	v_fmac_f32_e32 v26, v27, v14
	s_waitcnt vmcnt(1) lgkmcnt(10)
	v_mul_f32_e32 v27, v69, v9
	v_fma_f32 v3, v3, v14, -v15
	s_waitcnt lgkmcnt(8)
	v_mul_f32_e32 v14, v5, v11
	v_mul_f32_e32 v11, v25, v11
	;; [unrolled: 1-line block ×3, first 2 shown]
	v_fmac_f32_e32 v27, v65, v8
	v_add_f32_e32 v65, v46, v33
	v_fmac_f32_e32 v14, v25, v10
	v_fma_f32 v5, v5, v10, -v11
	v_fma_f32 v8, v69, v8, -v9
	v_add_f32_e32 v11, v47, v27
	v_add_f32_e32 v25, v48, v86
	;; [unrolled: 1-line block ×3, first 2 shown]
	v_sub_f32_e32 v27, v27, v14
	v_add_f32_e32 v65, v65, v67
	v_add_f32_e32 v11, v11, v14
	;; [unrolled: 1-line block ×3, first 2 shown]
	v_fmac_f32_e32 v47, -0.5, v10
	v_add_f32_e32 v10, v7, v102
	v_add_f32_e32 v68, v107, v68
	s_waitcnt lgkmcnt(0)
	v_add_f32_e32 v107, v28, v8
	v_add_f32_e32 v25, v25, v108
	v_sub_f32_e32 v7, v7, v102
	v_fmac_f32_e32 v44, -0.5, v10
	v_add_f32_e32 v10, v81, v72
	v_add_f32_e32 v14, v14, v102
	;; [unrolled: 1-line block ×3, first 2 shown]
	v_lshlrev_b32_sdwa v101, v38, v101 dst_sel:DWORD dst_unused:UNUSED_PAD src0_sel:DWORD src1_sel:BYTE_0
	v_sub_f32_e32 v111, v35, v6
	v_fmac_f32_e32 v45, -0.5, v106
	v_add_f32_e32 v107, v107, v5
	v_sub_f32_e32 v69, v34, v30
	v_mul_u32_u24_sdwa v73, v54, v110 dst_sel:DWORD dst_unused:UNUSED_PAD src0_sel:WORD_0 src1_sel:DWORD
	v_lshlrev_b32_sdwa v87, v38, v87 dst_sel:DWORD dst_unused:UNUSED_PAD src0_sel:DWORD src1_sel:WORD_0
	v_add3_u32 v101, 0, v112, v101
	s_waitcnt vmcnt(0)
	s_barrier
	buffer_gl0_inv
	v_add3_u32 v83, 0, v83, v87
	v_mul_lo_u16 v87, 0x48, v32
	v_mul_f32_e32 v15, v4, v17
	v_mul_f32_e32 v29, v31, v19
	;; [unrolled: 1-line block ×4, first 2 shown]
	v_fmac_f32_e32 v15, v24, v16
	v_fmac_f32_e32 v29, v64, v18
	v_add_f32_e32 v64, v33, v67
	v_fma_f32 v9, v31, v18, -v19
	v_add_f32_e32 v18, v49, v84
	v_add_f32_e32 v24, v86, v108
	v_fma_f32 v4, v4, v16, -v17
	v_add_f32_e32 v17, v84, v85
	v_fmac_f32_e32 v46, -0.5, v64
	v_add_f32_e32 v64, v15, v29
	v_sub_f32_e32 v33, v33, v67
	v_add_f32_e32 v67, v43, v15
	v_sub_f32_e32 v16, v8, v5
	v_sub_f32_e32 v84, v84, v85
	v_add_f32_e32 v18, v18, v85
	v_add_f32_e32 v85, v105, v26
	v_fmac_f32_e32 v48, -0.5, v24
	v_add_f32_e32 v24, v42, v105
	v_add_f32_e32 v8, v8, v5
	v_fmac_f32_e32 v49, -0.5, v17
	v_sub_f32_e32 v17, v0, v2
	v_sub_f32_e32 v86, v86, v108
	v_sub_f32_e32 v108, v1, v3
	v_sub_f32_e32 v15, v15, v29
	v_fmac_f32_e32 v43, -0.5, v64
	v_add_f32_e32 v64, v22, v0
	v_add_f32_e32 v0, v0, v2
	;; [unrolled: 1-line block ×5, first 2 shown]
	v_sub_f32_e32 v106, v4, v9
	v_fmac_f32_e32 v42, -0.5, v85
	v_add_f32_e32 v85, v34, v30
	v_sub_f32_e32 v105, v105, v26
	v_add_f32_e32 v24, v24, v26
	v_add_f32_e32 v26, v21, v35
	;; [unrolled: 1-line block ×5, first 2 shown]
	v_fmac_f32_e32 v28, -0.5, v8
	v_sub_f32_e32 v19, v81, v72
	v_add_f32_e32 v81, v13, v81
	v_fmac_f32_e32 v13, -0.5, v10
	v_sub_f32_e32 v31, v109, v39
	v_add_f32_e32 v109, v12, v109
	v_fmac_f32_e32 v12, -0.5, v102
	v_fmac_f32_e32 v22, -0.5, v0
	;; [unrolled: 1-line block ×3, first 2 shown]
	v_add_f32_e32 v34, v20, v34
	v_fmac_f32_e32 v20, -0.5, v85
	v_fmac_f32_e32 v21, -0.5, v35
	v_add_f32_e32 v9, v5, v9
	v_fmac_f32_e32 v100, -0.5, v4
	v_fmamk_f32 v0, v16, 0xbf5db3d7, v47
	v_fmamk_f32 v5, v17, 0xbf5db3d7, v44
	v_fmac_f32_e32 v44, 0x3f5db3d7, v17
	v_fmamk_f32 v17, v27, 0x3f5db3d7, v28
	v_fmac_f32_e32 v47, 0x3f5db3d7, v16
	v_fmac_f32_e32 v28, 0xbf5db3d7, v27
	v_add_f32_e32 v8, v81, v72
	v_fmamk_f32 v1, v19, 0xbf5db3d7, v49
	v_fmac_f32_e32 v49, 0x3f5db3d7, v19
	v_fmamk_f32 v19, v84, 0x3f5db3d7, v13
	v_fmac_f32_e32 v13, 0xbf5db3d7, v84
	v_add_f32_e32 v10, v109, v39
	v_add_f32_e32 v26, v26, v6
	;; [unrolled: 1-line block ×4, first 2 shown]
	v_fmamk_f32 v2, v31, 0xbf5db3d7, v48
	v_fmac_f32_e32 v48, 0x3f5db3d7, v31
	v_fmamk_f32 v3, v69, 0xbf5db3d7, v46
	v_fmac_f32_e32 v46, 0x3f5db3d7, v69
	v_fmamk_f32 v4, v111, 0xbf5db3d7, v45
	v_fmamk_f32 v6, v108, 0xbf5db3d7, v42
	;; [unrolled: 1-line block ×4, first 2 shown]
	v_fmac_f32_e32 v22, 0xbf5db3d7, v7
	v_fmamk_f32 v7, v105, 0x3f5db3d7, v23
	v_add_f32_e32 v72, v34, v30
	v_fmac_f32_e32 v45, 0x3f5db3d7, v111
	v_fmac_f32_e32 v42, 0x3f5db3d7, v108
	v_fmamk_f32 v16, v106, 0xbf5db3d7, v43
	v_fmac_f32_e32 v43, 0x3f5db3d7, v106
	v_fmac_f32_e32 v12, 0xbf5db3d7, v86
	v_fmamk_f32 v69, v33, 0x3f5db3d7, v20
	v_fmac_f32_e32 v20, 0xbf5db3d7, v33
	v_fmamk_f32 v81, v99, 0x3f5db3d7, v21
	v_fmac_f32_e32 v21, 0xbf5db3d7, v99
	v_fmac_f32_e32 v23, 0xbf5db3d7, v105
	v_fmamk_f32 v85, v15, 0x3f5db3d7, v100
	v_fmac_f32_e32 v100, 0xbf5db3d7, v15
	ds_write2_b32 v101, v11, v0 offset1:24
	ds_write_b32 v101, v47 offset:192
	ds_write2_b32 v62, v18, v1 offset1:24
	ds_write_b32 v62, v49 offset:192
	;; [unrolled: 2-line block ×8, first 2 shown]
	s_waitcnt lgkmcnt(0)
	s_barrier
	buffer_gl0_inv
	ds_read_b32 v4, v89
	ds_read_b32 v3, v60
	;; [unrolled: 1-line block ×7, first 2 shown]
	ds_read_b32 v122, v89 offset:5796
	ds_read2_b32 v[33:34], v74 offset0:177 offset1:240
	ds_read2_b32 v[30:31], v75 offset0:55 offset1:118
	;; [unrolled: 1-line block ×7, first 2 shown]
	ds_read_b32 v123, v59
	ds_read_b32 v39, v58
	s_waitcnt lgkmcnt(0)
	s_barrier
	buffer_gl0_inv
	ds_write2_b32 v101, v107, v17 offset1:24
	ds_write_b32 v101, v28 offset:192
	ds_write2_b32 v62, v8, v19 offset1:24
	ds_write_b32 v62, v13 offset:192
	;; [unrolled: 2-line block ×8, first 2 shown]
	v_lshrrev_b16 v9, 12, v80
	v_mul_u32_u24_sdwa v7, v51, v110 dst_sel:DWORD dst_unused:UNUSED_PAD src0_sel:WORD_0 src1_sel:DWORD
	v_lshrrev_b32_e32 v11, 22, v73
	v_sub_nc_u16 v10, v52, v87
	v_mul_u32_u24_sdwa v13, v53, v110 dst_sel:DWORD dst_unused:UNUSED_PAD src0_sel:WORD_0 src1_sel:DWORD
	v_mul_lo_u16 v8, 0x48, v9
	v_lshrrev_b32_e32 v14, 22, v7
	v_mul_lo_u16 v7, 0x48, v11
	v_lshlrev_b32_sdwa v12, v61, v10 dst_sel:DWORD dst_unused:UNUSED_PAD src0_sel:DWORD src1_sel:BYTE_0
	s_waitcnt lgkmcnt(0)
	v_sub_nc_u16 v15, v93, v8
	v_mul_lo_u16 v8, 0x48, v14
	v_sub_nc_u16 v16, v54, v7
	s_barrier
	buffer_gl0_inv
	global_load_dwordx4 v[26:29], v12, s[8:9] offset:560
	v_sub_nc_u16 v18, v51, v8
	v_lshlrev_b32_sdwa v8, v61, v16 dst_sel:DWORD dst_unused:UNUSED_PAD src0_sel:DWORD src1_sel:WORD_0
	v_mul_u32_u24_sdwa v7, v50, v110 dst_sel:DWORD dst_unused:UNUSED_PAD src0_sel:WORD_0 src1_sel:DWORD
	global_load_dwordx4 v[22:25], v[103:104], off offset:560
	ds_read2_b32 v[72:73], v77 offset0:47 offset1:110
	v_lshlrev_b32_e32 v19, 2, v66
	global_load_dwordx4 v[62:65], v8, s[8:9] offset:560
	v_lshrrev_b32_e32 v12, 22, v13
	v_lshlrev_b32_sdwa v13, v61, v15 dst_sel:DWORD dst_unused:UNUSED_PAD src0_sel:DWORD src1_sel:BYTE_0
	v_lshrrev_b32_e32 v7, 22, v7
	v_mov_b32_e32 v20, 0x360
	v_mul_u32_u24_e32 v11, 0x360, v11
	v_mul_lo_u16 v17, 0x48, v12
	global_load_dwordx4 v[42:45], v13, s[8:9] offset:560
	v_mul_lo_u16 v7, 0x48, v7
	v_mul_u32_u24_e32 v14, 0x360, v14
	v_lshlrev_b32_sdwa v16, v38, v16 dst_sel:DWORD dst_unused:UNUSED_PAD src0_sel:DWORD src1_sel:WORD_0
	v_sub_nc_u16 v13, v53, v17
	v_lshlrev_b32_sdwa v17, v61, v18 dst_sel:DWORD dst_unused:UNUSED_PAD src0_sel:DWORD src1_sel:WORD_0
	v_lshlrev_b32_sdwa v18, v38, v18 dst_sel:DWORD dst_unused:UNUSED_PAD src0_sel:DWORD src1_sel:WORD_0
	v_mul_u32_u24_e32 v21, 0x360, v12
	v_lshlrev_b32_sdwa v8, v61, v13 dst_sel:DWORD dst_unused:UNUSED_PAD src0_sel:DWORD src1_sel:WORD_0
	s_clause 0x1
	global_load_dwordx4 v[96:99], v17, s[8:9] offset:560
	global_load_dwordx4 v[100:103], v8, s[8:9] offset:560
	v_sub_nc_u16 v17, v50, v7
	v_add_co_u32 v7, s0, s8, v40
	v_add_co_ci_u32_e64 v8, s0, s9, v41, s0
	v_and_b32_e32 v17, 0xffff, v17
	ds_read2_b32 v[50:51], v75 offset0:55 offset1:118
	v_cmp_lt_u32_e64 s0, 8, v92
	global_load_dwordx4 v[104:107], v[7:8], off offset:560
	v_lshlrev_b32_e32 v7, 4, v17
	v_cndmask_b32_e64 v8, 0, 0x360, s0
	v_cmp_gt_u32_e64 s0, 27, v92
	global_load_dwordx4 v[108:111], v7, s[8:9] offset:560
	v_add_nc_u32_e32 v7, 0x400, v89
	v_add3_u32 v8, 0, v8, v19
	v_mul_u32_u24_sdwa v19, v32, v20 dst_sel:DWORD dst_unused:UNUSED_PAD src0_sel:WORD_0 src1_sel:DWORD
	v_mul_u32_u24_sdwa v20, v9, v20 dst_sel:DWORD dst_unused:UNUSED_PAD src0_sel:WORD_0 src1_sel:DWORD
	v_lshlrev_b32_sdwa v9, v38, v10 dst_sel:DWORD dst_unused:UNUSED_PAD src0_sel:DWORD src1_sel:BYTE_0
	v_lshlrev_b32_sdwa v10, v38, v15 dst_sel:DWORD dst_unused:UNUSED_PAD src0_sel:DWORD src1_sel:BYTE_0
	v_lshlrev_b32_sdwa v32, v38, v13 dst_sel:DWORD dst_unused:UNUSED_PAD src0_sel:DWORD src1_sel:WORD_0
	v_add3_u32 v13, 0, v11, v16
	v_add3_u32 v11, 0, v14, v18
	;; [unrolled: 1-line block ×3, first 2 shown]
	v_lshl_add_u32 v9, v17, 2, 0
	ds_read2_b32 v[81:82], v75 offset0:181 offset1:244
	ds_read2_b32 v[116:117], v77 offset0:173 offset1:236
	;; [unrolled: 1-line block ×4, first 2 shown]
	ds_read_b32 v38, v59
	ds_read_b32 v41, v58
	ds_read2_b32 v[58:59], v74 offset0:177 offset1:240
	ds_read_b32 v19, v60
	ds_read_b32 v18, v55
	;; [unrolled: 1-line block ×4, first 2 shown]
	v_add3_u32 v15, 0, v20, v10
	v_add3_u32 v10, 0, v21, v32
	ds_read_b32 v20, v91
	ds_read_b32 v21, v90
	v_add_nc_u32_e32 v14, 0x1400, v9
	s_waitcnt vmcnt(7) lgkmcnt(13)
	v_mul_f32_e32 v35, v51, v27
	s_waitcnt vmcnt(6)
	v_mul_f32_e32 v53, v50, v23
	v_mul_f32_e32 v23, v30, v23
	;; [unrolled: 1-line block ×4, first 2 shown]
	v_fmac_f32_e32 v35, v31, v26
	v_fmac_f32_e32 v53, v30, v22
	v_fma_f32 v86, v50, v22, -v23
	ds_read_b32 v50, v89 offset:5796
	ds_read_b32 v22, v89
	v_mul_f32_e32 v23, v31, v27
	v_fmac_f32_e32 v80, v46, v24
	v_mul_f32_e32 v46, v73, v29
	v_fma_f32 v83, v72, v24, -v25
	v_mul_f32_e32 v24, v47, v29
	v_fma_f32 v84, v51, v26, -v23
	s_waitcnt vmcnt(4)
	v_mul_f32_e32 v23, v48, v43
	v_fmac_f32_e32 v46, v47, v28
	s_waitcnt lgkmcnt(13)
	v_mul_f32_e32 v47, v116, v45
	v_mul_f32_e32 v25, v67, v45
	;; [unrolled: 1-line block ×4, first 2 shown]
	s_waitcnt vmcnt(3) lgkmcnt(12)
	v_mul_f32_e32 v27, v118, v97
	v_mul_f32_e32 v32, v112, v97
	v_fma_f32 v72, v73, v28, -v24
	v_mul_f32_e32 v28, v82, v63
	v_mul_f32_e32 v29, v117, v65
	v_fma_f32 v85, v81, v42, -v23
	s_waitcnt lgkmcnt(11)
	v_mul_f32_e32 v31, v120, v99
	s_waitcnt vmcnt(2)
	v_mul_f32_e32 v23, v119, v101
	v_mul_f32_e32 v24, v121, v103
	;; [unrolled: 1-line block ×3, first 2 shown]
	v_fmac_f32_e32 v47, v67, v44
	v_fma_f32 v81, v116, v44, -v25
	v_mul_f32_e32 v43, v113, v101
	s_waitcnt vmcnt(1) lgkmcnt(10)
	v_mul_f32_e32 v87, v38, v105
	s_waitcnt lgkmcnt(8)
	v_mul_f32_e32 v97, v59, v107
	v_mul_f32_e32 v44, v115, v103
	v_fma_f32 v82, v82, v62, -v26
	v_mul_f32_e32 v45, v123, v105
	v_mul_f32_e32 v51, v34, v107
	v_fmac_f32_e32 v87, v123, v104
	s_waitcnt vmcnt(0)
	v_mul_f32_e32 v25, v58, v109
	s_waitcnt lgkmcnt(1)
	v_mul_f32_e32 v26, v50, v111
	v_fmac_f32_e32 v97, v34, v106
	v_fmac_f32_e32 v40, v48, v42
	v_mul_f32_e32 v42, v114, v99
	v_fmac_f32_e32 v28, v49, v62
	v_fmac_f32_e32 v29, v68, v64
	v_mul_f32_e32 v54, v33, v109
	v_mul_f32_e32 v55, v122, v111
	v_fmac_f32_e32 v27, v112, v96
	v_fmac_f32_e32 v31, v114, v98
	v_fmac_f32_e32 v23, v113, v100
	v_fmac_f32_e32 v24, v115, v102
	v_fma_f32 v48, v117, v64, -v30
	v_fma_f32 v73, v118, v96, -v32
	;; [unrolled: 1-line block ×6, first 2 shown]
	v_fmac_f32_e32 v25, v33, v108
	v_fmac_f32_e32 v26, v122, v110
	v_add_f32_e32 v38, v87, v97
	v_add_f32_e32 v44, v53, v80
	v_fma_f32 v49, v120, v98, -v42
	v_fma_f32 v34, v58, v108, -v54
	;; [unrolled: 1-line block ×3, first 2 shown]
	v_add_f32_e32 v54, v35, v46
	v_add_f32_e32 v55, v40, v47
	;; [unrolled: 1-line block ×6, first 2 shown]
	v_sub_f32_e32 v43, v102, v100
	v_add_f32_e32 v59, v2, v28
	v_add_f32_e32 v66, v25, v26
	v_fmac_f32_e32 v4, -0.5, v38
	v_add_f32_e32 v45, v6, v53
	v_sub_f32_e32 v50, v86, v83
	v_fmac_f32_e32 v6, -0.5, v44
	v_add_f32_e32 v51, v5, v35
	v_sub_f32_e32 v56, v84, v72
	v_add_f32_e32 v57, v3, v40
	v_sub_f32_e32 v58, v85, v81
	v_sub_f32_e32 v61, v82, v48
	v_add_f32_e32 v62, v1, v27
	v_sub_f32_e32 v64, v73, v49
	v_add_f32_e32 v67, v0, v23
	v_sub_f32_e32 v69, v32, v30
	v_fmac_f32_e32 v5, -0.5, v54
	v_fmac_f32_e32 v3, -0.5, v55
	;; [unrolled: 1-line block ×5, first 2 shown]
	v_add_f32_e32 v68, v39, v25
	v_sub_f32_e32 v98, v34, v33
	v_add_f32_e32 v42, v42, v97
	v_fmac_f32_e32 v39, -0.5, v66
	v_add_f32_e32 v54, v59, v29
	v_fmamk_f32 v59, v43, 0xbf5db3d7, v4
	v_fmac_f32_e32 v4, 0x3f5db3d7, v43
	v_add_f32_e32 v44, v45, v80
	v_fmamk_f32 v43, v50, 0xbf5db3d7, v6
	v_fmac_f32_e32 v6, 0x3f5db3d7, v50
	v_add_f32_e32 v45, v51, v46
	v_add_f32_e32 v51, v57, v47
	;; [unrolled: 1-line block ×4, first 2 shown]
	v_fmamk_f32 v50, v56, 0xbf5db3d7, v5
	v_fmac_f32_e32 v5, 0x3f5db3d7, v56
	v_fmamk_f32 v56, v58, 0xbf5db3d7, v3
	v_fmac_f32_e32 v3, 0x3f5db3d7, v58
	;; [unrolled: 2-line block ×3, first 2 shown]
	v_fmamk_f32 v60, v64, 0xbf5db3d7, v1
	v_fmamk_f32 v61, v69, 0xbf5db3d7, v0
	s_waitcnt lgkmcnt(0)
	s_barrier
	buffer_gl0_inv
	v_add_f32_e32 v96, v68, v26
	v_fmac_f32_e32 v1, 0x3f5db3d7, v64
	v_fmac_f32_e32 v0, 0x3f5db3d7, v69
	v_fmamk_f32 v38, v98, 0xbf5db3d7, v39
	v_fmac_f32_e32 v39, 0x3f5db3d7, v98
	ds_write2_b32 v89, v42, v59 offset1:72
	ds_write_b32 v89, v4 offset:576
	ds_write2_b32 v8, v44, v43 offset1:72
	ds_write_b32 v8, v6 offset:576
	;; [unrolled: 2-line block ×7, first 2 shown]
	ds_write2_b32 v14, v96, v38 offset0:16 offset1:88
	ds_write_b32 v9, v39 offset:5760
	s_waitcnt lgkmcnt(0)
	s_barrier
	buffer_gl0_inv
	ds_read2_b32 v[50:51], v89 offset1:216
	ds_read2_b32 v[56:57], v7 offset0:176 offset1:239
	ds_read2_b32 v[66:67], v75 offset0:46 offset1:136
	ds_read_b32 v99, v91
	ds_read_b32 v98, v90
	ds_read_b32 v101, v89 offset:5688
	ds_read2_b32 v[58:59], v74 offset0:96 offset1:159
	ds_read2_b32 v[68:69], v78 offset0:94 offset1:184
	ds_read2_b32 v[62:63], v79 offset0:16 offset1:79
	ds_read2_b32 v[64:65], v7 offset0:23 offset1:86
	ds_read2_b32 v[60:61], v76 offset0:71 offset1:134
	ds_read2_b32 v[54:55], v77 offset0:119 offset1:182
	v_sub_nc_u32_e32 v0, 0, v71
                                        ; implicit-def: $vgpr45
                                        ; implicit-def: $vgpr43
	v_add_nc_u32_e32 v0, v70, v0
	s_and_saveexec_b32 s1, s0
	s_cbranch_execz .LBB0_15
; %bb.14:
	v_add_nc_u32_e32 v1, 0x600, v89
	v_add_nc_u32_e32 v2, 0xd00, v89
	;; [unrolled: 1-line block ×3, first 2 shown]
	ds_read_b32 v96, v0
	ds_read2_b32 v[38:39], v1 offset0:21 offset1:237
	ds_read2_b32 v[44:45], v2 offset0:5 offset1:221
	;; [unrolled: 1-line block ×3, first 2 shown]
.LBB0_15:
	s_or_b32 exec_lo, exec_lo, s1
	v_add_f32_e32 v1, v102, v100
	v_add_f32_e32 v4, v86, v83
	;; [unrolled: 1-line block ×3, first 2 shown]
	v_sub_f32_e32 v3, v87, v97
	v_sub_f32_e32 v5, v53, v80
	v_fmac_f32_e32 v22, -0.5, v1
	v_add_f32_e32 v1, v21, v86
	v_fmac_f32_e32 v21, -0.5, v4
	v_add_f32_e32 v53, v20, v84
	v_sub_f32_e32 v28, v28, v29
	v_fmamk_f32 v4, v3, 0x3f5db3d7, v22
	v_fmac_f32_e32 v22, 0xbf5db3d7, v3
	v_add_f32_e32 v3, v84, v72
	v_fmamk_f32 v6, v5, 0x3f5db3d7, v21
	v_fmac_f32_e32 v21, 0xbf5db3d7, v5
	v_add_f32_e32 v5, v85, v81
	v_add_f32_e32 v2, v2, v100
	v_fmac_f32_e32 v20, -0.5, v3
	v_sub_f32_e32 v3, v35, v46
	v_add_f32_e32 v46, v19, v85
	v_fmac_f32_e32 v19, -0.5, v5
	v_sub_f32_e32 v5, v40, v47
	v_add_f32_e32 v40, v82, v48
	v_fmamk_f32 v47, v3, 0x3f5db3d7, v20
	v_fmac_f32_e32 v20, 0xbf5db3d7, v3
	v_add_f32_e32 v3, v46, v81
	v_fmamk_f32 v46, v5, 0x3f5db3d7, v19
	v_fmac_f32_e32 v19, 0xbf5db3d7, v5
	v_add_f32_e32 v5, v73, v49
	v_add_f32_e32 v35, v53, v72
	;; [unrolled: 1-line block ×3, first 2 shown]
	v_fmac_f32_e32 v18, -0.5, v40
	v_add_f32_e32 v40, v17, v73
	v_fmac_f32_e32 v17, -0.5, v5
	v_sub_f32_e32 v5, v27, v31
	v_add_f32_e32 v29, v53, v48
	v_add_f32_e32 v31, v32, v30
	v_add_f32_e32 v32, v16, v32
	v_sub_f32_e32 v23, v23, v24
	v_fmamk_f32 v48, v5, 0x3f5db3d7, v17
	v_fmac_f32_e32 v17, 0xbf5db3d7, v5
	v_add_f32_e32 v5, v34, v33
	v_fmac_f32_e32 v16, -0.5, v31
	v_add_f32_e32 v24, v41, v34
	v_add_f32_e32 v1, v1, v83
	v_fmamk_f32 v27, v28, 0x3f5db3d7, v18
	v_fmac_f32_e32 v41, -0.5, v5
	v_sub_f32_e32 v5, v25, v26
	v_fmac_f32_e32 v18, 0xbf5db3d7, v28
	v_add_f32_e32 v28, v40, v49
	v_add_f32_e32 v25, v32, v30
	v_fmamk_f32 v26, v23, 0x3f5db3d7, v16
	v_fmac_f32_e32 v16, 0xbf5db3d7, v23
	v_add_f32_e32 v97, v24, v33
	v_fmamk_f32 v40, v5, 0x3f5db3d7, v41
	v_fmac_f32_e32 v41, 0xbf5db3d7, v5
	s_waitcnt lgkmcnt(0)
	s_barrier
	buffer_gl0_inv
	ds_write2_b32 v89, v2, v4 offset1:72
	ds_write_b32 v89, v22 offset:576
	ds_write2_b32 v8, v1, v6 offset1:72
	ds_write_b32 v8, v21 offset:576
	;; [unrolled: 2-line block ×7, first 2 shown]
	ds_write2_b32 v14, v97, v40 offset0:16 offset1:88
	ds_write_b32 v9, v41 offset:5760
	s_waitcnt lgkmcnt(0)
	s_barrier
	buffer_gl0_inv
	ds_read2_b32 v[70:71], v89 offset1:216
	ds_read2_b32 v[72:73], v7 offset0:176 offset1:239
	ds_read2_b32 v[84:85], v75 offset0:46 offset1:136
	;; [unrolled: 1-line block ×8, first 2 shown]
	ds_read_b32 v102, v91
	ds_read_b32 v100, v90
	ds_read_b32 v103, v89 offset:5688
                                        ; implicit-def: $vgpr47
                                        ; implicit-def: $vgpr49
	s_and_saveexec_b32 s1, s0
	s_cbranch_execz .LBB0_17
; %bb.16:
	v_add_nc_u32_e32 v1, 0x600, v89
	v_add_nc_u32_e32 v2, 0xd00, v89
	;; [unrolled: 1-line block ×3, first 2 shown]
	ds_read_b32 v97, v0
	ds_read2_b32 v[40:41], v1 offset0:21 offset1:237
	ds_read2_b32 v[46:47], v2 offset0:5 offset1:221
	;; [unrolled: 1-line block ×3, first 2 shown]
.LBB0_17:
	s_or_b32 exec_lo, exec_lo, s1
	s_and_saveexec_b32 s1, vcc_lo
	s_cbranch_execz .LBB0_20
; %bb.18:
	v_mul_u32_u24_e32 v0, 6, v92
	v_mul_i32_i24_e32 v52, 6, v52
	v_mov_b32_e32 v53, 0
	v_add_nc_u32_e32 v113, 0xd8, v92
	v_mad_u64_u32 v[105:106], null, s2, v92, 0
	v_lshlrev_b32_e32 v0, 3, v0
	v_add_nc_u32_e32 v114, 0x1b0, v92
	v_mad_u64_u32 v[107:108], null, s2, v113, 0
	s_clause 0x2
	global_load_dwordx4 v[32:35], v0, s[8:9] offset:1728
	global_load_dwordx4 v[24:27], v0, s[8:9] offset:1744
	;; [unrolled: 1-line block ×3, first 2 shown]
	v_lshlrev_b64 v[0:1], 3, v[52:53]
	v_mul_i32_i24_e32 v52, 6, v88
	v_mad_u64_u32 v[109:110], null, s2, v114, 0
	v_mad_u64_u32 v[111:112], null, s3, v92, v[106:107]
	v_add_co_u32 v0, vcc_lo, s8, v0
	v_add_co_ci_u32_e32 v1, vcc_lo, s9, v1, vcc_lo
	s_clause 0x2
	global_load_dwordx4 v[20:23], v[0:1], off offset:1728
	global_load_dwordx4 v[12:15], v[0:1], off offset:1712
	global_load_dwordx4 v[16:19], v[0:1], off offset:1744
	v_lshlrev_b64 v[0:1], 3, v[52:53]
	v_add_nc_u32_e32 v115, 0x288, v92
	v_add_nc_u32_e32 v104, 0x360, v92
	v_mad_u64_u32 v[112:113], null, s3, v113, v[108:109]
	v_mad_u64_u32 v[113:114], null, s3, v114, v[110:111]
	v_add_co_u32 v8, vcc_lo, s8, v0
	v_add_co_ci_u32_e32 v9, vcc_lo, s9, v1, vcc_lo
	s_clause 0x2
	global_load_dwordx4 v[0:3], v[8:9], off offset:1712
	global_load_dwordx4 v[4:7], v[8:9], off offset:1744
	;; [unrolled: 1-line block ×3, first 2 shown]
	v_mad_u64_u32 v[88:89], null, s2, v115, 0
	v_mad_u64_u32 v[90:91], null, s2, v104, 0
	v_mov_b32_e32 v106, v111
	v_mov_b32_e32 v108, v112
	;; [unrolled: 1-line block ×3, first 2 shown]
	v_add_co_u32 v36, vcc_lo, s12, v36
	v_lshlrev_b64 v[105:106], 3, v[105:106]
	v_mad_u64_u32 v[111:112], null, s3, v115, v[89:90]
	v_add_co_ci_u32_e32 v37, vcc_lo, s13, v37, vcc_lo
	v_lshlrev_b64 v[107:108], 3, v[107:108]
	v_add_co_u32 v105, vcc_lo, v36, v105
	v_add_co_ci_u32_e32 v106, vcc_lo, v37, v106, vcc_lo
	v_add_nc_u32_e32 v52, 0x438, v92
	v_add_co_u32 v107, vcc_lo, v36, v107
	v_lshlrev_b64 v[109:110], 3, v[109:110]
	v_add_co_ci_u32_e32 v108, vcc_lo, v37, v108, vcc_lo
	s_waitcnt vmcnt(8) lgkmcnt(8)
	v_mul_f32_e32 v89, v74, v35
	v_mul_f32_e32 v112, v85, v33
	v_mul_f32_e32 v33, v67, v33
	v_mul_f32_e32 v35, v58, v35
	s_waitcnt vmcnt(7) lgkmcnt(6)
	v_mul_f32_e32 v113, v78, v27
	v_mul_f32_e32 v114, v87, v25
	;; [unrolled: 1-line block ×4, first 2 shown]
	s_waitcnt vmcnt(6)
	v_mul_f32_e32 v115, v71, v29
	v_mul_f32_e32 v116, v72, v31
	;; [unrolled: 1-line block ×4, first 2 shown]
	v_fmac_f32_e32 v89, v58, v34
	v_fmac_f32_e32 v112, v67, v32
	v_fma_f32 v32, v85, v32, -v33
	v_fma_f32 v33, v74, v34, -v35
	v_fmac_f32_e32 v113, v62, v26
	v_fmac_f32_e32 v114, v69, v24
	v_fma_f32 v26, v78, v26, -v27
	v_fma_f32 v24, v87, v24, -v25
	;; [unrolled: 4-line block ×3, first 2 shown]
	s_waitcnt vmcnt(5)
	v_mul_f32_e32 v28, v86, v23
	v_mul_f32_e32 v23, v68, v23
	s_waitcnt lgkmcnt(4)
	v_mul_f32_e32 v29, v83, v21
	v_mul_f32_e32 v21, v61, v21
	s_waitcnt vmcnt(4)
	v_mul_f32_e32 v30, v84, v15
	v_mul_f32_e32 v31, v81, v13
	s_waitcnt vmcnt(3) lgkmcnt(0)
	v_mul_f32_e32 v34, v103, v19
	v_mul_f32_e32 v19, v101, v19
	;; [unrolled: 1-line block ×6, first 2 shown]
	v_sub_f32_e32 v51, v115, v113
	v_add_f32_e32 v56, v115, v113
	v_sub_f32_e32 v58, v89, v112
	v_add_f32_e32 v62, v89, v112
	;; [unrolled: 2-line block ×3, first 2 shown]
	v_add_f32_e32 v71, v25, v26
	v_sub_f32_e32 v25, v25, v26
	v_add_f32_e32 v26, v33, v32
	v_sub_f32_e32 v32, v33, v32
	;; [unrolled: 2-line block ×3, first 2 shown]
	v_fmac_f32_e32 v28, v68, v22
	v_fma_f32 v22, v86, v22, -v23
	v_fmac_f32_e32 v29, v61, v20
	v_fma_f32 v20, v83, v20, -v21
	v_fmac_f32_e32 v30, v66, v14
	v_fmac_f32_e32 v34, v101, v18
	v_fma_f32 v18, v103, v18, -v19
	v_fmac_f32_e32 v31, v65, v12
	v_fmac_f32_e32 v35, v55, v16
	v_fma_f32 v12, v81, v12, -v13
	v_fma_f32 v13, v77, v16, -v17
	;; [unrolled: 1-line block ×3, first 2 shown]
	s_waitcnt vmcnt(2)
	v_mul_f32_e32 v15, v80, v1
	s_waitcnt vmcnt(1)
	v_mul_f32_e32 v16, v79, v7
	;; [unrolled: 2-line block ×3, first 2 shown]
	v_mul_f32_e32 v19, v82, v9
	v_mul_f32_e32 v21, v73, v3
	;; [unrolled: 1-line block ×9, first 2 shown]
	v_sub_f32_e32 v27, v51, v58
	v_sub_f32_e32 v55, v58, v67
	v_add_f32_e32 v58, v58, v67
	v_sub_f32_e32 v65, v26, v33
	v_add_f32_e32 v66, v71, v33
	v_sub_f32_e32 v68, v56, v62
	v_sub_f32_e32 v72, v62, v69
	v_add_f32_e32 v74, v56, v69
	v_sub_f32_e32 v56, v69, v56
	v_sub_f32_e32 v69, v32, v24
	v_fmac_f32_e32 v15, v64, v0
	v_fmac_f32_e32 v16, v63, v6
	;; [unrolled: 1-line block ×5, first 2 shown]
	v_sub_f32_e32 v57, v31, v34
	v_add_f32_e32 v31, v31, v34
	v_sub_f32_e32 v34, v28, v29
	v_add_f32_e32 v28, v28, v29
	v_sub_f32_e32 v29, v30, v35
	v_add_f32_e32 v30, v30, v35
	v_add_f32_e32 v35, v12, v18
	v_sub_f32_e32 v12, v12, v18
	v_add_f32_e32 v18, v22, v20
	v_sub_f32_e32 v20, v22, v20
	;; [unrolled: 2-line block ×3, first 2 shown]
	v_fmac_f32_e32 v23, v54, v4
	v_fma_f32 v6, v79, v6, -v7
	v_fma_f32 v0, v80, v0, -v1
	;; [unrolled: 1-line block ×4, first 2 shown]
	v_sub_f32_e32 v61, v71, v26
	v_sub_f32_e32 v33, v33, v71
	;; [unrolled: 1-line block ×3, first 2 shown]
	v_add_f32_e32 v32, v32, v24
	v_sub_f32_e32 v67, v67, v51
	v_sub_f32_e32 v24, v24, v25
	v_fma_f32 v1, v82, v8, -v9
	v_fma_f32 v7, v75, v10, -v11
	v_mul_f32_e32 v3, 0x3f08b237, v55
	v_add_f32_e32 v5, v51, v58
	v_mul_f32_e32 v9, 0x3d64c772, v65
	v_add_f32_e32 v10, v26, v66
	;; [unrolled: 2-line block ×3, first 2 shown]
	v_mul_f32_e32 v51, 0x3f08b237, v69
	v_sub_f32_e32 v55, v57, v34
	v_sub_f32_e32 v58, v34, v29
	v_add_f32_e32 v34, v34, v29
	v_sub_f32_e32 v59, v35, v18
	v_sub_f32_e32 v60, v18, v22
	v_add_f32_e32 v62, v35, v22
	;; [unrolled: 3-line block ×3, first 2 shown]
	v_sub_f32_e32 v69, v20, v13
	v_sub_f32_e32 v22, v22, v35
	;; [unrolled: 1-line block ×6, first 2 shown]
	v_add_f32_e32 v73, v0, v6
	v_add_f32_e32 v75, v2, v4
	;; [unrolled: 1-line block ×5, first 2 shown]
	v_mul_f32_e32 v8, 0x3f4a47b2, v61
	v_mul_f32_e32 v11, 0x3f4a47b2, v68
	v_add_f32_e32 v25, v25, v32
	v_mul_f32_e32 v32, 0xbf5ff5aa, v67
	v_mul_f32_e32 v54, 0xbf5ff5aa, v24
	v_sub_f32_e32 v66, v12, v20
	v_add_f32_e32 v20, v20, v13
	v_sub_f32_e32 v29, v29, v57
	v_sub_f32_e32 v13, v13, v12
	v_add_f32_e32 v74, v7, v1
	v_sub_f32_e32 v6, v0, v6
	v_sub_f32_e32 v7, v7, v1
	;; [unrolled: 1-line block ×3, first 2 shown]
	v_fmamk_f32 v4, v61, 0x3f4a47b2, v9
	v_add_f32_e32 v1, v70, v10
	v_add_f32_e32 v0, v50, v26
	v_fmamk_f32 v23, v71, 0xbeae86e6, v51
	v_fma_f32 v24, 0xbf5ff5aa, v24, -v51
	v_add_f32_e32 v34, v57, v34
	v_mul_f32_e32 v51, 0x3d64c772, v60
	v_add_f32_e32 v18, v18, v62
	v_add_f32_e32 v28, v28, v65
	v_mul_f32_e32 v57, 0x3f08b237, v69
	v_sub_f32_e32 v60, v31, v35
	v_sub_f32_e32 v61, v35, v72
	v_add_f32_e32 v35, v35, v72
	v_add_f32_e32 v65, v73, v75
	;; [unrolled: 1-line block ×3, first 2 shown]
	v_fmamk_f32 v19, v27, 0xbeae86e6, v3
	v_fmamk_f32 v21, v68, 0x3f4a47b2, v14
	v_fma_f32 v27, 0x3eae86e6, v27, -v32
	v_fma_f32 v8, 0xbf3bfb3b, v33, -v8
	;; [unrolled: 1-line block ×7, first 2 shown]
	v_mul_f32_e32 v14, 0x3f08b237, v58
	v_mul_f32_e32 v50, 0x3f4a47b2, v59
	;; [unrolled: 1-line block ×4, first 2 shown]
	v_add_f32_e32 v12, v12, v20
	v_mul_f32_e32 v20, 0xbf5ff5aa, v29
	v_mul_f32_e32 v58, 0xbf5ff5aa, v13
	v_sub_f32_e32 v62, v73, v74
	v_sub_f32_e32 v64, v74, v75
	;; [unrolled: 1-line block ×6, first 2 shown]
	v_add_f32_e32 v7, v7, v2
	v_sub_f32_e32 v72, v72, v31
	v_sub_f32_e32 v15, v17, v15
	;; [unrolled: 1-line block ×3, first 2 shown]
	v_fmamk_f32 v2, v10, 0xbf955555, v1
	v_fmamk_f32 v10, v26, 0xbf955555, v0
	global_store_dwordx2 v[105:106], v[0:1], off
	v_add_f32_e32 v1, v102, v18
	v_add_f32_e32 v0, v99, v28
	;; [unrolled: 1-line block ×5, first 2 shown]
	v_sub_f32_e32 v73, v75, v73
	v_fmac_f32_e32 v19, 0xbee1c552, v5
	v_fmac_f32_e32 v23, 0xbee1c552, v25
	;; [unrolled: 1-line block ×6, first 2 shown]
	v_fmamk_f32 v25, v55, 0xbeae86e6, v14
	v_fmamk_f32 v26, v59, 0x3f4a47b2, v51
	;; [unrolled: 1-line block ×4, first 2 shown]
	v_fma_f32 v55, 0x3eae86e6, v55, -v20
	v_fma_f32 v20, 0xbf3bfb3b, v22, -v50
	;; [unrolled: 1-line block ×8, first 2 shown]
	v_mul_f32_e32 v5, 0x3f08b237, v61
	v_mul_f32_e32 v13, 0x3f4a47b2, v62
	;; [unrolled: 1-line block ×6, first 2 shown]
	v_add_f32_e32 v61, v6, v7
	v_mul_f32_e32 v6, 0xbf5ff5aa, v72
	v_mul_f32_e32 v7, 0xbf5ff5aa, v17
	v_add_f32_e32 v64, v4, v2
	v_add_f32_e32 v21, v21, v10
	;; [unrolled: 1-line block ×6, first 2 shown]
	v_fmamk_f32 v18, v18, 0xbf955555, v1
	v_fmamk_f32 v28, v28, 0xbf955555, v0
	v_add_f32_e32 v3, v100, v35
	v_add_f32_e32 v2, v98, v16
	v_fmac_f32_e32 v25, 0xbee1c552, v34
	v_fmac_f32_e32 v55, 0xbee1c552, v34
	;; [unrolled: 1-line block ×5, first 2 shown]
	v_fmamk_f32 v68, v60, 0xbeae86e6, v5
	v_fmamk_f32 v34, v62, 0x3f4a47b2, v14
	;; [unrolled: 1-line block ×4, first 2 shown]
	v_fma_f32 v60, 0x3eae86e6, v60, -v6
	v_fma_f32 v69, 0xbf3bfb3b, v73, -v13
	;; [unrolled: 1-line block ×8, first 2 shown]
	v_sub_f32_e32 v4, v21, v23
	v_add_f32_e32 v7, v27, v65
	v_add_f32_e32 v8, v24, v10
	v_sub_f32_e32 v10, v10, v24
	v_sub_f32_e32 v13, v65, v27
	v_add_f32_e32 v14, v23, v21
	v_add_f32_e32 v24, v26, v18
	;; [unrolled: 1-line block ×7, first 2 shown]
	v_fmamk_f32 v28, v35, 0xbf955555, v3
	v_fmamk_f32 v30, v16, 0xbf955555, v2
	v_fmac_f32_e32 v63, 0xbee1c552, v12
	v_add_f32_e32 v5, v19, v64
	v_sub_f32_e32 v6, v66, v32
	v_add_f32_e32 v12, v32, v66
	v_sub_f32_e32 v15, v64, v19
	v_fmac_f32_e32 v68, 0xbee1c552, v31
	v_fmac_f32_e32 v67, 0xbee1c552, v61
	;; [unrolled: 1-line block ×6, first 2 shown]
	v_sub_f32_e32 v16, v27, v54
	v_sub_f32_e32 v19, v20, v29
	v_add_f32_e32 v18, v51, v22
	v_add_f32_e32 v21, v29, v20
	v_sub_f32_e32 v20, v22, v51
	v_add_f32_e32 v22, v54, v27
	v_add_f32_e32 v50, v34, v28
	;; [unrolled: 1-line block ×7, first 2 shown]
	v_sub_f32_e32 v9, v11, v33
	v_add_f32_e32 v11, v33, v11
	global_store_dwordx2 v[107:108], v[14:15], off
	v_add_f32_e32 v15, v25, v24
	v_sub_f32_e32 v14, v26, v63
	v_add_f32_e32 v17, v55, v23
	v_sub_f32_e32 v23, v23, v55
	v_sub_f32_e32 v25, v24, v25
	v_add_f32_e32 v24, v63, v26
	v_add_f32_e32 v27, v68, v50
	v_sub_f32_e32 v26, v54, v67
	v_add_f32_e32 v29, v60, v34
	v_sub_f32_e32 v28, v51, v70
	v_sub_f32_e32 v31, v32, v72
	v_add_f32_e32 v30, v58, v35
	v_add_f32_e32 v33, v72, v32
	v_sub_f32_e32 v32, v35, v58
	v_sub_f32_e32 v35, v34, v60
	v_add_f32_e32 v34, v70, v51
	v_sub_f32_e32 v51, v50, v68
	v_add_f32_e32 v50, v67, v54
	v_mad_u64_u32 v[54:55], null, s2, v52, 0
	v_add_co_u32 v56, vcc_lo, v36, v109
	v_add_co_ci_u32_e32 v57, vcc_lo, v37, v110, vcc_lo
	v_add_nc_u32_e32 v62, 0x510, v92
	v_mad_u64_u32 v[58:59], null, s3, v104, v[91:92]
	global_store_dwordx2 v[56:57], v[12:13], off
	v_mad_u64_u32 v[55:56], null, s3, v52, v[55:56]
	v_mad_u64_u32 v[56:57], null, s2, v62, 0
	v_mov_b32_e32 v89, v111
	v_mov_b32_e32 v91, v58
	v_add_nc_u32_e32 v67, 0x117, v92
	v_mad_u64_u32 v[60:61], null, s2, v95, 0
	v_lshlrev_b64 v[12:13], 3, v[88:89]
	v_mov_b32_e32 v52, v57
	v_lshlrev_b64 v[58:59], 3, v[90:91]
	v_lshlrev_b64 v[54:55], 3, v[54:55]
	v_mad_u64_u32 v[62:63], null, s3, v62, v[52:53]
	v_add_co_u32 v12, vcc_lo, v36, v12
	v_add_co_ci_u32_e32 v13, vcc_lo, v37, v13, vcc_lo
	v_add_co_u32 v58, vcc_lo, v36, v58
	v_mad_u64_u32 v[63:64], null, s2, v67, 0
	v_add_co_ci_u32_e32 v59, vcc_lo, v37, v59, vcc_lo
	v_add_co_u32 v54, vcc_lo, v36, v54
	v_mov_b32_e32 v57, v62
	v_mov_b32_e32 v52, v61
	v_add_co_ci_u32_e32 v55, vcc_lo, v37, v55, vcc_lo
	global_store_dwordx2 v[12:13], v[10:11], off
	global_store_dwordx2 v[58:59], v[8:9], off
	;; [unrolled: 1-line block ×3, first 2 shown]
	v_lshlrev_b64 v[7:8], 3, v[56:57]
	v_mov_b32_e32 v6, v64
	v_mad_u64_u32 v[65:66], null, s3, v95, v[52:53]
	v_add_nc_u32_e32 v52, 0x1ef, v92
	v_add_nc_u32_e32 v58, 0x2c7, v92
	v_mad_u64_u32 v[9:10], null, s3, v67, v[6:7]
	v_add_co_u32 v6, vcc_lo, v36, v7
	v_mad_u64_u32 v[10:11], null, s2, v52, 0
	v_mad_u64_u32 v[12:13], null, s2, v58, 0
	v_mov_b32_e32 v61, v65
	v_mov_b32_e32 v64, v9
	v_add_co_ci_u32_e32 v7, vcc_lo, v37, v8, vcc_lo
	v_lshlrev_b64 v[8:9], 3, v[60:61]
	v_mad_u64_u32 v[56:57], null, s3, v52, v[11:12]
	v_lshlrev_b64 v[54:55], 3, v[63:64]
	v_add_nc_u32_e32 v52, 0x39f, v92
	global_store_dwordx2 v[6:7], v[4:5], off
	v_add_co_u32 v8, vcc_lo, v36, v8
	v_add_co_ci_u32_e32 v9, vcc_lo, v37, v9, vcc_lo
	v_mov_b32_e32 v11, v56
	v_mad_u64_u32 v[56:57], null, s3, v58, v[13:14]
	v_add_co_u32 v54, vcc_lo, v36, v54
	v_add_co_ci_u32_e32 v55, vcc_lo, v37, v55, vcc_lo
	global_store_dwordx2 v[8:9], v[2:3], off
	v_mad_u64_u32 v[4:5], null, s2, v52, 0
	v_mov_b32_e32 v13, v56
	global_store_dwordx2 v[54:55], v[50:51], off
	v_add_nc_u32_e32 v50, 0x477, v92
	v_lshlrev_b64 v[2:3], 3, v[10:11]
	v_lshlrev_b64 v[6:7], 3, v[12:13]
	v_lshrrev_b32_e32 v12, 3, v94
	v_mad_u64_u32 v[8:9], null, s2, v50, 0
	v_add_co_u32 v2, vcc_lo, v36, v2
	v_mul_hi_u32 v51, 0x97b425f, v12
	v_mad_u64_u32 v[10:11], null, s3, v52, v[5:6]
	v_add_nc_u32_e32 v13, 0x54f, v92
	v_add_co_ci_u32_e32 v3, vcc_lo, v37, v3, vcc_lo
	v_add_co_u32 v6, vcc_lo, v36, v6
	v_mov_b32_e32 v5, v9
	v_mad_u64_u32 v[11:12], null, s2, v13, 0
	v_mad_u32_u24 v54, 0x510, v51, v94
	global_store_dwordx2 v[2:3], v[34:35], off
	v_mad_u64_u32 v[50:51], null, s3, v50, v[5:6]
	v_mov_b32_e32 v5, v10
	v_mad_u64_u32 v[51:52], null, s2, v54, 0
	v_add_co_ci_u32_e32 v7, vcc_lo, v37, v7, vcc_lo
	v_lshlrev_b64 v[3:4], 3, v[4:5]
	v_mov_b32_e32 v2, v12
	v_mov_b32_e32 v9, v50
	global_store_dwordx2 v[6:7], v[32:33], off
	v_mad_u64_u32 v[5:6], null, s3, v13, v[2:3]
	v_mov_b32_e32 v2, v52
	v_add_co_u32 v3, vcc_lo, v36, v3
	v_add_nc_u32_e32 v13, 0xd8, v54
	v_lshlrev_b64 v[6:7], 3, v[8:9]
	v_add_co_ci_u32_e32 v4, vcc_lo, v37, v4, vcc_lo
	v_mad_u64_u32 v[8:9], null, s3, v54, v[2:3]
	v_mad_u64_u32 v[9:10], null, s2, v13, 0
	v_mov_b32_e32 v12, v5
	v_add_co_u32 v5, vcc_lo, v36, v6
	global_store_dwordx2 v[3:4], v[30:31], off
	v_add_co_ci_u32_e32 v6, vcc_lo, v37, v7, vcc_lo
	v_lshlrev_b64 v[3:4], 3, v[11:12]
	v_mov_b32_e32 v52, v8
	v_mov_b32_e32 v2, v10
	global_store_dwordx2 v[5:6], v[28:29], off
	v_add_nc_u32_e32 v11, 0x1b0, v54
	v_add_nc_u32_e32 v12, 0x288, v54
	v_lshlrev_b64 v[5:6], 3, v[51:52]
	v_mad_u64_u32 v[7:8], null, s3, v13, v[2:3]
	v_add_co_u32 v2, vcc_lo, v36, v3
	v_add_co_ci_u32_e32 v3, vcc_lo, v37, v4, vcc_lo
	v_add_co_u32 v4, vcc_lo, v36, v5
	v_add_co_ci_u32_e32 v5, vcc_lo, v37, v6, vcc_lo
	v_mov_b32_e32 v10, v7
	v_mad_u64_u32 v[6:7], null, s2, v11, 0
	global_store_dwordx2 v[2:3], v[26:27], off
	global_store_dwordx2 v[4:5], v[0:1], off
	v_add_nc_u32_e32 v13, 0x360, v54
	v_mad_u64_u32 v[2:3], null, s2, v12, 0
	v_lshlrev_b64 v[0:1], 3, v[9:10]
	v_mov_b32_e32 v4, v7
	v_mad_u64_u32 v[8:9], null, s2, v13, 0
	v_add_nc_u32_e32 v28, 0x438, v54
	v_add_nc_u32_e32 v29, 0x510, v54
	v_mad_u64_u32 v[4:5], null, s3, v11, v[4:5]
	v_add_co_u32 v0, vcc_lo, v36, v0
	v_add_co_ci_u32_e32 v1, vcc_lo, v37, v1, vcc_lo
	v_mad_u64_u32 v[10:11], null, s3, v12, v[3:4]
	v_mad_u64_u32 v[11:12], null, s2, v28, 0
	v_mov_b32_e32 v3, v9
	v_mov_b32_e32 v7, v4
	global_store_dwordx2 v[0:1], v[24:25], off
	v_mad_u64_u32 v[26:27], null, s3, v13, v[3:4]
	v_mad_u64_u32 v[4:5], null, s2, v29, 0
	v_mov_b32_e32 v0, v12
	v_mov_b32_e32 v3, v10
	v_lshlrev_b64 v[6:7], 3, v[6:7]
	v_mov_b32_e32 v9, v26
	v_mad_u64_u32 v[0:1], null, s3, v28, v[0:1]
	v_lshlrev_b64 v[2:3], 3, v[2:3]
	v_mov_b32_e32 v1, v5
	v_add_co_u32 v6, vcc_lo, v36, v6
	v_add_co_ci_u32_e32 v7, vcc_lo, v37, v7, vcc_lo
	v_mad_u64_u32 v[24:25], null, s3, v29, v[1:2]
	v_mov_b32_e32 v12, v0
	v_lshlrev_b64 v[8:9], 3, v[8:9]
	v_add_co_u32 v0, vcc_lo, v36, v2
	v_add_co_ci_u32_e32 v1, vcc_lo, v37, v3, vcc_lo
	v_mov_b32_e32 v5, v24
	v_lshlrev_b64 v[2:3], 3, v[11:12]
	v_add_co_u32 v8, vcc_lo, v36, v8
	v_add_co_ci_u32_e32 v9, vcc_lo, v37, v9, vcc_lo
	v_lshlrev_b64 v[4:5], 3, v[4:5]
	v_add_co_u32 v2, vcc_lo, v36, v2
	v_add_co_ci_u32_e32 v3, vcc_lo, v37, v3, vcc_lo
	v_add_co_u32 v4, vcc_lo, v36, v4
	v_add_co_ci_u32_e32 v5, vcc_lo, v37, v5, vcc_lo
	global_store_dwordx2 v[6:7], v[22:23], off
	global_store_dwordx2 v[0:1], v[20:21], off
	;; [unrolled: 1-line block ×5, first 2 shown]
	s_and_b32 exec_lo, exec_lo, s0
	s_cbranch_execz .LBB0_20
; %bb.19:
	v_subrev_nc_u32_e32 v0, 27, v92
	v_add_nc_u32_e32 v26, 0xbd, v92
	v_add_nc_u32_e32 v28, 0x195, v92
	;; [unrolled: 1-line block ×4, first 2 shown]
	v_cndmask_b32_e64 v0, v0, v93, s0
	v_add_nc_u32_e32 v31, 0x41d, v92
	v_add_nc_u32_e32 v32, 0x4f5, v92
	;; [unrolled: 1-line block ×3, first 2 shown]
	v_mad_u64_u32 v[12:13], null, s2, v26, 0
	v_mul_i32_i24_e32 v52, 6, v0
	v_mad_u64_u32 v[14:15], null, s2, v28, 0
	v_mad_u64_u32 v[16:17], null, s2, v29, 0
	v_lshlrev_b64 v[0:1], 3, v[52:53]
	v_mad_u64_u32 v[18:19], null, s2, v30, 0
	v_mad_u64_u32 v[20:21], null, s2, v31, 0
	;; [unrolled: 1-line block ×3, first 2 shown]
	v_add_co_u32 v8, vcc_lo, s8, v0
	v_add_co_ci_u32_e32 v9, vcc_lo, s9, v1, vcc_lo
	v_mad_u64_u32 v[24:25], null, s2, v33, 0
	s_clause 0x2
	global_load_dwordx4 v[0:3], v[8:9], off offset:1712
	global_load_dwordx4 v[4:7], v[8:9], off offset:1728
	;; [unrolled: 1-line block ×3, first 2 shown]
	v_mad_u64_u32 v[26:27], null, s3, v26, v[13:14]
	v_mad_u64_u32 v[27:28], null, s3, v28, v[15:16]
	;; [unrolled: 1-line block ×7, first 2 shown]
	v_mov_b32_e32 v13, v26
	v_mov_b32_e32 v15, v27
	v_mov_b32_e32 v17, v28
	v_mov_b32_e32 v21, v30
	v_mov_b32_e32 v23, v31
	v_mov_b32_e32 v19, v29
	v_lshlrev_b64 v[12:13], 3, v[12:13]
	v_mov_b32_e32 v25, v32
	v_lshlrev_b64 v[14:15], 3, v[14:15]
	v_lshlrev_b64 v[16:17], 3, v[16:17]
	;; [unrolled: 1-line block ×4, first 2 shown]
	v_add_co_u32 v12, vcc_lo, v36, v12
	v_add_co_ci_u32_e32 v13, vcc_lo, v37, v13, vcc_lo
	v_add_co_u32 v14, vcc_lo, v36, v14
	v_add_co_ci_u32_e32 v15, vcc_lo, v37, v15, vcc_lo
	;; [unrolled: 2-line block ×3, first 2 shown]
	v_lshlrev_b64 v[22:23], 3, v[22:23]
	v_add_co_u32 v18, vcc_lo, v36, v18
	v_add_co_ci_u32_e32 v19, vcc_lo, v37, v19, vcc_lo
	v_lshlrev_b64 v[24:25], 3, v[24:25]
	v_add_co_u32 v20, vcc_lo, v36, v20
	v_add_co_ci_u32_e32 v21, vcc_lo, v37, v21, vcc_lo
	v_add_co_u32 v22, vcc_lo, v36, v22
	v_add_co_ci_u32_e32 v23, vcc_lo, v37, v23, vcc_lo
	;; [unrolled: 2-line block ×3, first 2 shown]
	s_waitcnt vmcnt(2)
	v_mul_f32_e32 v26, v40, v1
	v_mul_f32_e32 v1, v38, v1
	v_mul_f32_e32 v27, v41, v3
	v_mul_f32_e32 v3, v39, v3
	s_waitcnt vmcnt(1)
	v_mul_f32_e32 v28, v46, v5
	v_mul_f32_e32 v5, v44, v5
	s_waitcnt vmcnt(0)
	v_mul_f32_e32 v30, v48, v9
	v_mul_f32_e32 v9, v42, v9
	;; [unrolled: 1-line block ×6, first 2 shown]
	v_fmac_f32_e32 v26, v38, v0
	v_fma_f32 v0, v40, v0, -v1
	v_fmac_f32_e32 v27, v39, v2
	v_fma_f32 v1, v41, v2, -v3
	v_fma_f32 v2, v46, v4, -v5
	v_fmac_f32_e32 v31, v43, v10
	v_fma_f32 v3, v49, v10, -v11
	v_fmac_f32_e32 v30, v42, v8
	v_fma_f32 v5, v48, v8, -v9
	v_fmac_f32_e32 v28, v44, v4
	v_fmac_f32_e32 v29, v45, v6
	v_fma_f32 v4, v47, v6, -v7
	v_add_f32_e32 v6, v26, v31
	v_add_f32_e32 v7, v0, v3
	v_sub_f32_e32 v0, v0, v3
	v_add_f32_e32 v3, v27, v30
	v_add_f32_e32 v9, v1, v5
	v_sub_f32_e32 v8, v26, v31
	v_sub_f32_e32 v10, v27, v30
	v_sub_f32_e32 v1, v1, v5
	v_add_f32_e32 v5, v28, v29
	v_add_f32_e32 v11, v2, v4
	v_sub_f32_e32 v26, v29, v28
	v_sub_f32_e32 v2, v4, v2
	v_add_f32_e32 v4, v3, v6
	v_add_f32_e32 v27, v9, v7
	v_sub_f32_e32 v28, v3, v6
	v_sub_f32_e32 v29, v9, v7
	;; [unrolled: 1-line block ×6, first 2 shown]
	v_add_f32_e32 v30, v26, v10
	v_add_f32_e32 v31, v2, v1
	v_sub_f32_e32 v32, v26, v10
	v_sub_f32_e32 v33, v2, v1
	;; [unrolled: 1-line block ×3, first 2 shown]
	v_add_f32_e32 v4, v5, v4
	v_add_f32_e32 v5, v11, v27
	v_sub_f32_e32 v10, v10, v8
	v_sub_f32_e32 v26, v8, v26
	;; [unrolled: 1-line block ×3, first 2 shown]
	v_add_f32_e32 v8, v30, v8
	v_add_f32_e32 v11, v31, v0
	v_mul_f32_e32 v6, 0x3f4a47b2, v6
	v_mul_f32_e32 v7, 0x3f4a47b2, v7
	;; [unrolled: 1-line block ×7, first 2 shown]
	v_add_f32_e32 v0, v96, v4
	v_add_f32_e32 v1, v97, v5
	v_mul_f32_e32 v33, 0xbf5ff5aa, v10
	v_fmamk_f32 v3, v3, 0x3d64c772, v6
	v_fmamk_f32 v9, v9, 0x3d64c772, v7
	v_fma_f32 v27, 0x3f3bfb3b, v28, -v27
	v_fma_f32 v30, 0x3f3bfb3b, v29, -v30
	;; [unrolled: 1-line block ×4, first 2 shown]
	v_fmamk_f32 v28, v26, 0xbeae86e6, v31
	v_fmamk_f32 v29, v2, 0xbeae86e6, v32
	v_fma_f32 v10, 0xbf5ff5aa, v10, -v31
	v_fma_f32 v31, 0xbf5ff5aa, v34, -v32
	;; [unrolled: 1-line block ×3, first 2 shown]
	v_fmamk_f32 v2, v4, 0xbf955555, v0
	v_fmamk_f32 v4, v5, 0xbf955555, v1
	v_fma_f32 v26, 0x3eae86e6, v26, -v33
	v_fmac_f32_e32 v28, 0xbee1c552, v8
	v_fmac_f32_e32 v29, 0xbee1c552, v11
	v_fmac_f32_e32 v31, 0xbee1c552, v11
	v_fmac_f32_e32 v32, 0xbee1c552, v11
	global_store_dwordx2 v[12:13], v[0:1], off
	v_add_f32_e32 v11, v3, v2
	v_add_f32_e32 v12, v9, v4
	v_fmac_f32_e32 v26, 0xbee1c552, v8
	v_add_f32_e32 v9, v6, v2
	v_add_f32_e32 v13, v7, v4
	v_fmac_f32_e32 v10, 0xbee1c552, v8
	v_add_f32_e32 v8, v27, v2
	v_add_f32_e32 v7, v30, v4
	;; [unrolled: 1-line block ×3, first 2 shown]
	v_sub_f32_e32 v1, v12, v28
	v_add_f32_e32 v2, v32, v9
	v_sub_f32_e32 v3, v13, v26
	v_sub_f32_e32 v4, v8, v31
	v_add_f32_e32 v5, v10, v7
	v_add_f32_e32 v6, v31, v8
	v_sub_f32_e32 v7, v7, v10
	v_sub_f32_e32 v8, v9, v32
	v_add_f32_e32 v9, v26, v13
	v_sub_f32_e32 v10, v11, v29
	v_add_f32_e32 v11, v28, v12
	global_store_dwordx2 v[14:15], v[0:1], off
	global_store_dwordx2 v[16:17], v[2:3], off
	;; [unrolled: 1-line block ×6, first 2 shown]
.LBB0_20:
	s_endpgm
	.section	.rodata,"a",@progbits
	.p2align	6, 0x0
	.amdhsa_kernel fft_rtc_back_len1512_factors_2_2_2_3_3_3_7_wgs_63_tpt_63_halfLds_sp_ip_CI_sbrr_dirReg
		.amdhsa_group_segment_fixed_size 0
		.amdhsa_private_segment_fixed_size 0
		.amdhsa_kernarg_size 88
		.amdhsa_user_sgpr_count 6
		.amdhsa_user_sgpr_private_segment_buffer 1
		.amdhsa_user_sgpr_dispatch_ptr 0
		.amdhsa_user_sgpr_queue_ptr 0
		.amdhsa_user_sgpr_kernarg_segment_ptr 1
		.amdhsa_user_sgpr_dispatch_id 0
		.amdhsa_user_sgpr_flat_scratch_init 0
		.amdhsa_user_sgpr_private_segment_size 0
		.amdhsa_wavefront_size32 1
		.amdhsa_uses_dynamic_stack 0
		.amdhsa_system_sgpr_private_segment_wavefront_offset 0
		.amdhsa_system_sgpr_workgroup_id_x 1
		.amdhsa_system_sgpr_workgroup_id_y 0
		.amdhsa_system_sgpr_workgroup_id_z 0
		.amdhsa_system_sgpr_workgroup_info 0
		.amdhsa_system_vgpr_workitem_id 0
		.amdhsa_next_free_vgpr 124
		.amdhsa_next_free_sgpr 23
		.amdhsa_reserve_vcc 1
		.amdhsa_reserve_flat_scratch 0
		.amdhsa_float_round_mode_32 0
		.amdhsa_float_round_mode_16_64 0
		.amdhsa_float_denorm_mode_32 3
		.amdhsa_float_denorm_mode_16_64 3
		.amdhsa_dx10_clamp 1
		.amdhsa_ieee_mode 1
		.amdhsa_fp16_overflow 0
		.amdhsa_workgroup_processor_mode 1
		.amdhsa_memory_ordered 1
		.amdhsa_forward_progress 0
		.amdhsa_shared_vgpr_count 0
		.amdhsa_exception_fp_ieee_invalid_op 0
		.amdhsa_exception_fp_denorm_src 0
		.amdhsa_exception_fp_ieee_div_zero 0
		.amdhsa_exception_fp_ieee_overflow 0
		.amdhsa_exception_fp_ieee_underflow 0
		.amdhsa_exception_fp_ieee_inexact 0
		.amdhsa_exception_int_div_zero 0
	.end_amdhsa_kernel
	.text
.Lfunc_end0:
	.size	fft_rtc_back_len1512_factors_2_2_2_3_3_3_7_wgs_63_tpt_63_halfLds_sp_ip_CI_sbrr_dirReg, .Lfunc_end0-fft_rtc_back_len1512_factors_2_2_2_3_3_3_7_wgs_63_tpt_63_halfLds_sp_ip_CI_sbrr_dirReg
                                        ; -- End function
	.section	.AMDGPU.csdata,"",@progbits
; Kernel info:
; codeLenInByte = 17532
; NumSgprs: 25
; NumVgprs: 124
; ScratchSize: 0
; MemoryBound: 0
; FloatMode: 240
; IeeeMode: 1
; LDSByteSize: 0 bytes/workgroup (compile time only)
; SGPRBlocks: 3
; VGPRBlocks: 15
; NumSGPRsForWavesPerEU: 25
; NumVGPRsForWavesPerEU: 124
; Occupancy: 8
; WaveLimiterHint : 1
; COMPUTE_PGM_RSRC2:SCRATCH_EN: 0
; COMPUTE_PGM_RSRC2:USER_SGPR: 6
; COMPUTE_PGM_RSRC2:TRAP_HANDLER: 0
; COMPUTE_PGM_RSRC2:TGID_X_EN: 1
; COMPUTE_PGM_RSRC2:TGID_Y_EN: 0
; COMPUTE_PGM_RSRC2:TGID_Z_EN: 0
; COMPUTE_PGM_RSRC2:TIDIG_COMP_CNT: 0
	.text
	.p2alignl 6, 3214868480
	.fill 48, 4, 3214868480
	.type	__hip_cuid_2511c707a8e64d56,@object ; @__hip_cuid_2511c707a8e64d56
	.section	.bss,"aw",@nobits
	.globl	__hip_cuid_2511c707a8e64d56
__hip_cuid_2511c707a8e64d56:
	.byte	0                               ; 0x0
	.size	__hip_cuid_2511c707a8e64d56, 1

	.ident	"AMD clang version 19.0.0git (https://github.com/RadeonOpenCompute/llvm-project roc-6.4.0 25133 c7fe45cf4b819c5991fe208aaa96edf142730f1d)"
	.section	".note.GNU-stack","",@progbits
	.addrsig
	.addrsig_sym __hip_cuid_2511c707a8e64d56
	.amdgpu_metadata
---
amdhsa.kernels:
  - .args:
      - .actual_access:  read_only
        .address_space:  global
        .offset:         0
        .size:           8
        .value_kind:     global_buffer
      - .offset:         8
        .size:           8
        .value_kind:     by_value
      - .actual_access:  read_only
        .address_space:  global
        .offset:         16
        .size:           8
        .value_kind:     global_buffer
      - .actual_access:  read_only
        .address_space:  global
        .offset:         24
        .size:           8
        .value_kind:     global_buffer
      - .offset:         32
        .size:           8
        .value_kind:     by_value
      - .actual_access:  read_only
        .address_space:  global
        .offset:         40
        .size:           8
        .value_kind:     global_buffer
      - .actual_access:  read_only
        .address_space:  global
        .offset:         48
        .size:           8
        .value_kind:     global_buffer
      - .offset:         56
        .size:           4
        .value_kind:     by_value
      - .actual_access:  read_only
        .address_space:  global
        .offset:         64
        .size:           8
        .value_kind:     global_buffer
      - .actual_access:  read_only
        .address_space:  global
        .offset:         72
        .size:           8
        .value_kind:     global_buffer
      - .address_space:  global
        .offset:         80
        .size:           8
        .value_kind:     global_buffer
    .group_segment_fixed_size: 0
    .kernarg_segment_align: 8
    .kernarg_segment_size: 88
    .language:       OpenCL C
    .language_version:
      - 2
      - 0
    .max_flat_workgroup_size: 63
    .name:           fft_rtc_back_len1512_factors_2_2_2_3_3_3_7_wgs_63_tpt_63_halfLds_sp_ip_CI_sbrr_dirReg
    .private_segment_fixed_size: 0
    .sgpr_count:     25
    .sgpr_spill_count: 0
    .symbol:         fft_rtc_back_len1512_factors_2_2_2_3_3_3_7_wgs_63_tpt_63_halfLds_sp_ip_CI_sbrr_dirReg.kd
    .uniform_work_group_size: 1
    .uses_dynamic_stack: false
    .vgpr_count:     124
    .vgpr_spill_count: 0
    .wavefront_size: 32
    .workgroup_processor_mode: 1
amdhsa.target:   amdgcn-amd-amdhsa--gfx1030
amdhsa.version:
  - 1
  - 2
...

	.end_amdgpu_metadata
